;; amdgpu-corpus repo=ROCm/rocFFT kind=compiled arch=gfx90a opt=O3
	.text
	.amdgcn_target "amdgcn-amd-amdhsa--gfx90a"
	.amdhsa_code_object_version 6
	.protected	bluestein_single_fwd_len289_dim1_half_op_CI_CI ; -- Begin function bluestein_single_fwd_len289_dim1_half_op_CI_CI
	.globl	bluestein_single_fwd_len289_dim1_half_op_CI_CI
	.p2align	8
	.type	bluestein_single_fwd_len289_dim1_half_op_CI_CI,@function
bluestein_single_fwd_len289_dim1_half_op_CI_CI: ; @bluestein_single_fwd_len289_dim1_half_op_CI_CI
; %bb.0:
	s_load_dwordx4 s[16:19], s[4:5], 0x28
	v_mul_u32_u24_e32 v1, 0xf10, v0
	v_lshrrev_b32_e32 v2, 16, v1
	v_mad_u64_u32 v[16:17], s[0:1], s6, 7, v[2:3]
	v_mov_b32_e32 v17, 0
	s_waitcnt lgkmcnt(0)
	v_cmp_gt_u64_e32 vcc, s[16:17], v[16:17]
	s_and_saveexec_b64 s[0:1], vcc
	s_cbranch_execz .LBB0_2
; %bb.1:
	s_load_dwordx4 s[8:11], s[4:5], 0x18
	v_mul_lo_u16_e32 v1, 17, v2
	v_sub_u16_e32 v45, v0, v1
	v_mov_b32_e32 v17, 0x44
	v_lshlrev_b32_e32 v18, 2, v45
	s_waitcnt lgkmcnt(0)
	s_load_dwordx4 s[12:15], s[8:9], 0x0
	s_load_dwordx4 s[0:3], s[4:5], 0x0
	s_mov_b32 s16, 0xbacd
	s_mov_b32 s17, 0xbbdd
	s_mov_b32 s24, 0xb5c8
	s_waitcnt lgkmcnt(0)
	v_mad_u64_u32 v[0:1], s[6:7], s14, v16, 0
	v_mov_b32_e32 v4, v1
	v_mad_u64_u32 v[2:3], s[6:7], s12, v45, 0
	v_mad_u64_u32 v[4:5], s[6:7], s15, v16, v[4:5]
	v_mov_b32_e32 v6, v3
	v_mov_b32_e32 v1, v4
	v_mad_u64_u32 v[4:5], s[6:7], s13, v45, v[6:7]
	v_lshlrev_b64 v[0:1], 2, v[0:1]
	v_mov_b32_e32 v3, v4
	v_mov_b32_e32 v4, s19
	v_add_co_u32_e32 v5, vcc, s18, v0
	v_addc_co_u32_e32 v4, vcc, v4, v1, vcc
	v_lshlrev_b64 v[0:1], 2, v[2:3]
	v_add_co_u32_e32 v0, vcc, v5, v0
	v_addc_co_u32_e32 v1, vcc, v4, v1, vcc
	global_load_dword v2, v[0:1], off
	v_mad_u64_u32 v[0:1], s[6:7], s12, v17, v[0:1]
	global_load_dword v46, v18, s[0:1]
	s_mul_i32 s6, s13, 0x44
	v_add_u32_e32 v1, s6, v1
	global_load_dword v3, v[0:1], off
	global_load_dword v44, v18, s[0:1] offset:68
	v_mad_u64_u32 v[0:1], s[8:9], s12, v17, v[0:1]
	v_add_u32_e32 v1, s6, v1
	global_load_dword v4, v[0:1], off
	global_load_dword v43, v18, s[0:1] offset:136
	v_mad_u64_u32 v[0:1], s[8:9], s12, v17, v[0:1]
	v_add_u32_e32 v1, s6, v1
	global_load_dword v5, v[0:1], off
	global_load_dword v42, v18, s[0:1] offset:204
	s_mov_b32 s7, 0x24924925
	v_mul_hi_u32 v6, v16, s7
	v_sub_u32_e32 v7, v16, v6
	v_lshrrev_b32_e32 v7, 1, v7
	v_add_u32_e32 v6, v7, v6
	v_lshrrev_b32_e32 v6, 2, v6
	v_mul_lo_u32 v6, v6, 7
	v_sub_u32_e32 v6, v16, v6
	v_mad_u64_u32 v[0:1], s[14:15], s12, v17, v[0:1]
	v_mul_u32_u24_e32 v6, 0x121, v6
	v_add_u32_e32 v1, s6, v1
	s_load_dwordx4 s[8:11], s[10:11], 0x0
	global_load_dword v41, v18, s[0:1] offset:272
	global_load_dword v40, v18, s[0:1] offset:340
	;; [unrolled: 1-line block ×4, first 2 shown]
	v_lshlrev_b32_e32 v10, 2, v6
	global_load_dword v6, v[0:1], off
	v_mad_u64_u32 v[0:1], s[14:15], s12, v17, v[0:1]
	v_add_u32_e32 v1, s6, v1
	global_load_dword v7, v[0:1], off
	v_mad_u64_u32 v[0:1], s[14:15], s12, v17, v[0:1]
	v_add_u32_e32 v1, s6, v1
	;; [unrolled: 3-line block ×4, first 2 shown]
	global_load_dword v11, v[0:1], off
	v_mad_u64_u32 v[0:1], s[14:15], s12, v17, v[0:1]
	global_load_dword v37, v18, s[0:1] offset:544
	global_load_dword v36, v18, s[0:1] offset:612
	v_add_u32_e32 v1, s6, v1
	global_load_dword v12, v[0:1], off
	v_add_u32_e32 v28, v18, v10
	v_mad_u64_u32 v[0:1], s[14:15], s12, v17, v[0:1]
	v_add_u32_e32 v1, s6, v1
	s_movk_i32 s7, 0x3722
	s_mov_b32 s20, 0xb964
	s_mov_b32 s18, 0xbb29
	;; [unrolled: 1-line block ×5, first 2 shown]
	s_movk_i32 s28, 0x3836
	s_movk_i32 s19, 0x3bb2
	s_movk_i32 s23, 0x3b29
	s_movk_i32 s30, 0x35c8
	s_movk_i32 s26, 0x3964
	s_movk_i32 s27, 0x3a62
	s_movk_i32 s21, 0x3bf7
	s_movk_i32 s31, 0x31e1
	s_load_dwordx2 s[4:5], s[4:5], 0x38
	s_waitcnt vmcnt(19)
	v_lshrrev_b32_e32 v13, 16, v2
	s_waitcnt vmcnt(18)
	v_mul_f16_sdwa v14, v46, v2 dst_sel:DWORD dst_unused:UNUSED_PAD src0_sel:WORD_1 src1_sel:DWORD
	v_mul_f16_sdwa v15, v46, v13 dst_sel:DWORD dst_unused:UNUSED_PAD src0_sel:WORD_1 src1_sel:DWORD
	v_fma_f16 v13, v46, v13, -v14
	v_fma_f16 v2, v46, v2, v15
	s_waitcnt vmcnt(17)
	v_lshrrev_b32_e32 v14, 16, v3
	s_waitcnt vmcnt(16)
	v_mul_f16_sdwa v15, v44, v3 dst_sel:DWORD dst_unused:UNUSED_PAD src0_sel:WORD_1 src1_sel:DWORD
	v_pack_b32_f16 v2, v2, v13
	v_mul_f16_sdwa v13, v44, v14 dst_sel:DWORD dst_unused:UNUSED_PAD src0_sel:WORD_1 src1_sel:DWORD
	v_fma_f16 v14, v44, v14, -v15
	v_fma_f16 v3, v44, v3, v13
	s_waitcnt vmcnt(15)
	v_lshrrev_b32_e32 v13, 16, v4
	v_pack_b32_f16 v3, v3, v14
	s_waitcnt vmcnt(14)
	v_mul_f16_sdwa v14, v43, v13 dst_sel:DWORD dst_unused:UNUSED_PAD src0_sel:WORD_1 src1_sel:DWORD
	ds_write2_b32 v28, v2, v3 offset1:17
	v_fma_f16 v2, v43, v4, v14
	v_mul_f16_sdwa v3, v43, v4 dst_sel:DWORD dst_unused:UNUSED_PAD src0_sel:WORD_1 src1_sel:DWORD
	global_load_dword v4, v[0:1], off
	global_load_dword v35, v18, s[0:1] offset:680
	v_mad_u64_u32 v[0:1], s[14:15], s12, v17, v[0:1]
	v_add_u32_e32 v1, s6, v1
	v_fma_f16 v3, v43, v13, -v3
	global_load_dword v13, v[0:1], off
	global_load_dword v34, v18, s[0:1] offset:748
	v_mad_u64_u32 v[0:1], s[14:15], s12, v17, v[0:1]
	v_add_u32_e32 v1, s6, v1
	global_load_dword v14, v[0:1], off
	global_load_dword v33, v18, s[0:1] offset:816
	v_mad_u64_u32 v[0:1], s[14:15], s12, v17, v[0:1]
	v_add_u32_e32 v1, s6, v1
	;; [unrolled: 4-line block ×3, first 2 shown]
	v_pack_b32_f16 v2, v2, v3
	s_waitcnt vmcnt(21)
	v_lshrrev_b32_e32 v3, 16, v5
	global_load_dword v20, v[0:1], off
	global_load_dword v31, v18, s[0:1] offset:952
	s_waitcnt vmcnt(22)
	v_mul_f16_sdwa v15, v42, v3 dst_sel:DWORD dst_unused:UNUSED_PAD src0_sel:WORD_1 src1_sel:DWORD
	v_mad_u64_u32 v[0:1], s[14:15], s12, v17, v[0:1]
	v_fma_f16 v15, v42, v5, v15
	v_mul_f16_sdwa v5, v42, v5 dst_sel:DWORD dst_unused:UNUSED_PAD src0_sel:WORD_1 src1_sel:DWORD
	v_add_u32_e32 v1, s6, v1
	v_fma_f16 v3, v42, v3, -v5
	global_load_dword v5, v[0:1], off
	global_load_dword v30, v18, s[0:1] offset:1020
	v_pack_b32_f16 v3, v15, v3
	v_mad_u64_u32 v[0:1], s[12:13], s12, v17, v[0:1]
	ds_write2_b32 v28, v2, v3 offset0:34 offset1:51
	v_add_u32_e32 v1, s6, v1
	global_load_dword v2, v[0:1], off
	global_load_dword v29, v18, s[0:1] offset:1088
	s_waitcnt vmcnt(21)
	v_lshrrev_b32_e32 v0, 16, v6
	v_mul_f16_sdwa v1, v41, v0 dst_sel:DWORD dst_unused:UNUSED_PAD src0_sel:WORD_1 src1_sel:DWORD
	v_mul_f16_sdwa v3, v41, v6 dst_sel:DWORD dst_unused:UNUSED_PAD src0_sel:WORD_1 src1_sel:DWORD
	v_fma_f16 v1, v41, v6, v1
	v_fma_f16 v0, v41, v0, -v3
	v_pack_b32_f16 v0, v1, v0
	s_waitcnt vmcnt(20)
	v_lshrrev_b32_e32 v1, 16, v7
	v_mul_f16_sdwa v3, v40, v1 dst_sel:DWORD dst_unused:UNUSED_PAD src0_sel:WORD_1 src1_sel:DWORD
	v_mul_f16_sdwa v6, v40, v7 dst_sel:DWORD dst_unused:UNUSED_PAD src0_sel:WORD_1 src1_sel:DWORD
	v_fma_f16 v3, v40, v7, v3
	v_fma_f16 v1, v40, v1, -v6
	v_pack_b32_f16 v1, v3, v1
	ds_write2_b32 v28, v0, v1 offset0:68 offset1:85
	s_waitcnt vmcnt(19)
	v_lshrrev_b32_e32 v0, 16, v8
	v_mul_f16_sdwa v1, v39, v0 dst_sel:DWORD dst_unused:UNUSED_PAD src0_sel:WORD_1 src1_sel:DWORD
	v_mul_f16_sdwa v3, v39, v8 dst_sel:DWORD dst_unused:UNUSED_PAD src0_sel:WORD_1 src1_sel:DWORD
	v_fma_f16 v1, v39, v8, v1
	v_fma_f16 v0, v39, v0, -v3
	v_pack_b32_f16 v0, v1, v0
	s_waitcnt vmcnt(18)
	v_lshrrev_b32_e32 v1, 16, v9
	v_mul_f16_sdwa v3, v38, v1 dst_sel:DWORD dst_unused:UNUSED_PAD src0_sel:WORD_1 src1_sel:DWORD
	v_mul_f16_sdwa v6, v38, v9 dst_sel:DWORD dst_unused:UNUSED_PAD src0_sel:WORD_1 src1_sel:DWORD
	v_fma_f16 v3, v38, v9, v3
	v_fma_f16 v1, v38, v1, -v6
	v_pack_b32_f16 v1, v3, v1
	ds_write2_b32 v28, v0, v1 offset0:102 offset1:119
	s_waitcnt vmcnt(17)
	v_lshrrev_b32_e32 v0, 16, v11
	s_waitcnt vmcnt(16)
	v_mul_f16_sdwa v1, v37, v0 dst_sel:DWORD dst_unused:UNUSED_PAD src0_sel:WORD_1 src1_sel:DWORD
	v_mul_f16_sdwa v3, v37, v11 dst_sel:DWORD dst_unused:UNUSED_PAD src0_sel:WORD_1 src1_sel:DWORD
	v_fma_f16 v1, v37, v11, v1
	v_fma_f16 v0, v37, v0, -v3
	v_pack_b32_f16 v0, v1, v0
	s_waitcnt vmcnt(14)
	v_lshrrev_b32_e32 v1, 16, v12
	v_mul_f16_sdwa v3, v36, v1 dst_sel:DWORD dst_unused:UNUSED_PAD src0_sel:WORD_1 src1_sel:DWORD
	v_mul_f16_sdwa v6, v36, v12 dst_sel:DWORD dst_unused:UNUSED_PAD src0_sel:WORD_1 src1_sel:DWORD
	v_fma_f16 v3, v36, v12, v3
	v_fma_f16 v1, v36, v1, -v6
	v_pack_b32_f16 v1, v3, v1
	ds_write2_b32 v28, v0, v1 offset0:136 offset1:153
	s_movk_i32 s14, 0x3b76
	s_movk_i32 s12, 0x39e9
	;; [unrolled: 1-line block ×3, first 2 shown]
	s_mov_b32 s13, 0xb461
	s_mov_b32 s15, 0xb8d2
	s_waitcnt vmcnt(13)
	v_lshrrev_b32_e32 v0, 16, v4
	s_waitcnt vmcnt(12)
	v_mul_f16_sdwa v1, v35, v0 dst_sel:DWORD dst_unused:UNUSED_PAD src0_sel:WORD_1 src1_sel:DWORD
	v_mul_f16_sdwa v3, v35, v4 dst_sel:DWORD dst_unused:UNUSED_PAD src0_sel:WORD_1 src1_sel:DWORD
	v_fma_f16 v1, v35, v4, v1
	v_fma_f16 v0, v35, v0, -v3
	v_pack_b32_f16 v0, v1, v0
	s_waitcnt vmcnt(11)
	v_lshrrev_b32_e32 v1, 16, v13
	s_waitcnt vmcnt(10)
	v_mul_f16_sdwa v3, v34, v1 dst_sel:DWORD dst_unused:UNUSED_PAD src0_sel:WORD_1 src1_sel:DWORD
	v_mul_f16_sdwa v4, v34, v13 dst_sel:DWORD dst_unused:UNUSED_PAD src0_sel:WORD_1 src1_sel:DWORD
	v_fma_f16 v3, v34, v13, v3
	v_fma_f16 v1, v34, v1, -v4
	v_pack_b32_f16 v1, v3, v1
	ds_write2_b32 v28, v0, v1 offset0:170 offset1:187
	s_waitcnt vmcnt(9)
	v_lshrrev_b32_e32 v0, 16, v14
	s_waitcnt vmcnt(8)
	v_mul_f16_sdwa v1, v33, v0 dst_sel:DWORD dst_unused:UNUSED_PAD src0_sel:WORD_1 src1_sel:DWORD
	v_mul_f16_sdwa v3, v33, v14 dst_sel:DWORD dst_unused:UNUSED_PAD src0_sel:WORD_1 src1_sel:DWORD
	v_fma_f16 v1, v33, v14, v1
	v_fma_f16 v0, v33, v0, -v3
	v_pack_b32_f16 v0, v1, v0
	s_waitcnt vmcnt(7)
	v_lshrrev_b32_e32 v1, 16, v19
	s_waitcnt vmcnt(6)
	v_mul_f16_sdwa v3, v32, v1 dst_sel:DWORD dst_unused:UNUSED_PAD src0_sel:WORD_1 src1_sel:DWORD
	v_mul_f16_sdwa v4, v32, v19 dst_sel:DWORD dst_unused:UNUSED_PAD src0_sel:WORD_1 src1_sel:DWORD
	v_fma_f16 v3, v32, v19, v3
	v_fma_f16 v1, v32, v1, -v4
	v_pack_b32_f16 v1, v3, v1
	ds_write2_b32 v28, v0, v1 offset0:204 offset1:221
	;; [unrolled: 17-line block ×3, first 2 shown]
	s_waitcnt vmcnt(1)
	v_lshrrev_b32_e32 v0, 16, v2
	s_waitcnt vmcnt(0)
	v_mul_f16_sdwa v1, v29, v0 dst_sel:DWORD dst_unused:UNUSED_PAD src0_sel:WORD_1 src1_sel:DWORD
	v_fma_f16 v1, v29, v2, v1
	v_mul_f16_sdwa v2, v29, v2 dst_sel:DWORD dst_unused:UNUSED_PAD src0_sel:WORD_1 src1_sel:DWORD
	v_fma_f16 v0, v29, v0, -v2
	v_pack_b32_f16 v0, v1, v0
	ds_write_b32 v28, v0 offset:1088
	s_waitcnt lgkmcnt(0)
	s_barrier
	ds_read2_b32 v[12:13], v28 offset1:17
	ds_read2_b32 v[14:15], v28 offset0:34 offset1:51
	ds_read2_b32 v[6:7], v28 offset0:68 offset1:85
	;; [unrolled: 1-line block ×7, first 2 shown]
	ds_read_b32 v19, v28 offset:1088
	s_waitcnt lgkmcnt(8)
	v_add_f16_e32 v11, v13, v12
	v_add_f16_sdwa v22, v13, v12 dst_sel:DWORD dst_unused:UNUSED_PAD src0_sel:WORD_1 src1_sel:WORD_1
	s_waitcnt lgkmcnt(7)
	v_add_f16_e32 v11, v11, v14
	v_add_f16_sdwa v22, v22, v14 dst_sel:DWORD dst_unused:UNUSED_PAD src0_sel:DWORD src1_sel:WORD_1
	v_add_f16_e32 v11, v11, v15
	v_add_f16_sdwa v22, v22, v15 dst_sel:DWORD dst_unused:UNUSED_PAD src0_sel:DWORD src1_sel:WORD_1
	s_waitcnt lgkmcnt(6)
	v_add_f16_e32 v11, v11, v6
	v_add_f16_sdwa v22, v22, v6 dst_sel:DWORD dst_unused:UNUSED_PAD src0_sel:DWORD src1_sel:WORD_1
	v_add_f16_e32 v11, v11, v7
	v_add_f16_sdwa v22, v22, v7 dst_sel:DWORD dst_unused:UNUSED_PAD src0_sel:DWORD src1_sel:WORD_1
	;; [unrolled: 5-line block ×7, first 2 shown]
	s_waitcnt lgkmcnt(0)
	v_add_f16_e32 v11, v11, v19
	v_add_f16_sdwa v22, v22, v19 dst_sel:WORD_1 dst_unused:UNUSED_PAD src0_sel:DWORD src1_sel:WORD_1
	v_or_b32_e32 v11, v22, v11
	v_add_f16_e32 v22, v19, v13
	v_add_f16_sdwa v23, v19, v13 dst_sel:DWORD dst_unused:UNUSED_PAD src0_sel:WORD_1 src1_sel:WORD_1
	v_sub_f16_e32 v24, v13, v19
	v_sub_f16_sdwa v13, v13, v19 dst_sel:DWORD dst_unused:UNUSED_PAD src0_sel:WORD_1 src1_sel:WORD_1
	v_mul_f16_e32 v19, 0xb5c8, v13
	v_mul_f16_e32 v26, 0xb5c8, v24
	;; [unrolled: 1-line block ×16, first 2 shown]
	v_fma_f16 v25, v22, s14, -v19
	v_fma_f16 v27, v23, s14, v26
	v_fma_f16 v19, v22, s14, v19
	v_fma_f16 v26, v23, s14, -v26
	v_fma_f16 v48, v22, s12, -v47
	v_fma_f16 v50, v23, s12, v49
	v_fma_f16 v47, v22, s12, v47
	v_fma_f16 v49, v23, s12, -v49
	;; [unrolled: 4-line block ×8, first 2 shown]
	v_add_f16_e32 v25, v25, v12
	v_add_f16_sdwa v27, v27, v12 dst_sel:DWORD dst_unused:UNUSED_PAD src0_sel:DWORD src1_sel:WORD_1
	v_add_f16_e32 v19, v19, v12
	v_add_f16_sdwa v26, v26, v12 dst_sel:DWORD dst_unused:UNUSED_PAD src0_sel:DWORD src1_sel:WORD_1
	;; [unrolled: 2-line block ×16, first 2 shown]
	v_add_f16_e32 v22, v21, v14
	v_add_f16_sdwa v23, v21, v14 dst_sel:DWORD dst_unused:UNUSED_PAD src0_sel:WORD_1 src1_sel:WORD_1
	v_sub_f16_e32 v24, v14, v21
	v_sub_f16_sdwa v14, v14, v21 dst_sel:DWORD dst_unused:UNUSED_PAD src0_sel:WORD_1 src1_sel:WORD_1
	v_mul_f16_e32 v21, 0xb964, v14
	v_fma_f16 v73, v22, s12, -v21
	v_add_f16_e32 v25, v73, v25
	v_mul_f16_e32 v73, 0xb964, v24
	v_fma_f16 v21, v22, s12, v21
	v_add_f16_e32 v19, v21, v19
	v_fma_f16 v21, v23, s12, -v73
	v_add_f16_e32 v21, v21, v26
	v_mul_f16_e32 v26, 0xbbf7, v14
	v_fma_f16 v74, v23, s12, v73
	v_fma_f16 v73, v22, s6, -v26
	v_add_f16_e32 v48, v73, v48
	v_mul_f16_e32 v73, 0xbbf7, v24
	v_fma_f16 v26, v22, s6, v26
	v_add_f16_e32 v26, v26, v47
	v_fma_f16 v47, v23, s6, -v73
	v_add_f16_e32 v47, v47, v49
	v_mul_f16_e32 v49, 0xba62, v14
	v_add_f16_e32 v27, v74, v27
	v_fma_f16 v74, v23, s6, v73
	v_fma_f16 v73, v22, s15, -v49
	v_add_f16_e32 v52, v73, v52
	v_mul_f16_e32 v73, 0xba62, v24
	v_fma_f16 v49, v22, s15, v49
	v_add_f16_e32 v49, v49, v51
	v_fma_f16 v51, v23, s15, -v73
	v_add_f16_e32 v51, v51, v53
	v_mul_f16_e32 v53, 0xb1e1, v14
	v_add_f16_e32 v50, v74, v50
	;; [unrolled: 10-line block ×5, first 2 shown]
	v_fma_f16 v74, v23, s13, v73
	v_fma_f16 v73, v22, s7, -v65
	v_add_f16_e32 v68, v73, v68
	v_mul_f16_e32 v73, 0x3b29, v24
	v_fma_f16 v65, v22, s7, v65
	v_add_f16_e32 v65, v65, v67
	v_fma_f16 v67, v23, s7, -v73
	v_mul_f16_e32 v14, 0x35c8, v14
	v_add_f16_e32 v67, v67, v69
	v_fma_f16 v69, v22, s14, -v14
	v_mul_f16_e32 v24, 0x35c8, v24
	v_fma_f16 v14, v22, s14, v14
	v_add_f16_e32 v13, v14, v13
	v_fma_f16 v14, v23, s14, -v24
	v_add_f16_e32 v66, v74, v66
	v_fma_f16 v74, v23, s7, v73
	v_add_f16_e32 v69, v69, v71
	v_fma_f16 v71, v23, s14, v24
	v_add_f16_e32 v12, v14, v12
	v_add_f16_e32 v14, v20, v15
	v_add_f16_sdwa v22, v20, v15 dst_sel:DWORD dst_unused:UNUSED_PAD src0_sel:WORD_1 src1_sel:WORD_1
	v_sub_f16_e32 v23, v15, v20
	v_sub_f16_sdwa v15, v15, v20 dst_sel:DWORD dst_unused:UNUSED_PAD src0_sel:WORD_1 src1_sel:WORD_1
	v_mul_f16_e32 v20, 0xbb29, v15
	v_fma_f16 v24, v14, s7, -v20
	v_add_f16_e32 v24, v24, v25
	v_mul_f16_e32 v25, 0xbb29, v23
	v_fma_f16 v20, v14, s7, v20
	v_add_f16_e32 v19, v20, v19
	v_fma_f16 v20, v22, s7, -v25
	v_add_f16_e32 v20, v20, v21
	v_mul_f16_e32 v21, 0xba62, v15
	v_add_f16_e32 v71, v71, v72
	v_fma_f16 v72, v22, s7, v25
	v_fma_f16 v25, v14, s15, -v21
	v_add_f16_e32 v25, v25, v48
	v_mul_f16_e32 v48, 0xba62, v23
	v_fma_f16 v21, v14, s15, v21
	v_add_f16_e32 v21, v21, v26
	v_fma_f16 v26, v22, s15, -v48
	v_add_f16_e32 v26, v26, v47
	v_mul_f16_e32 v47, 0x31e1, v15
	v_add_f16_e32 v27, v72, v27
	v_fma_f16 v72, v22, s15, v48
	;; [unrolled: 10-line block ×6, first 2 shown]
	v_fma_f16 v64, v14, s6, -v63
	v_add_f16_e32 v64, v64, v68
	v_mul_f16_e32 v68, 0xbbf7, v23
	v_fma_f16 v63, v14, s6, v63
	v_add_f16_e32 v63, v63, v65
	v_fma_f16 v65, v22, s6, -v68
	v_mul_f16_e32 v15, 0xb836, v15
	v_add_f16_e32 v65, v65, v67
	v_fma_f16 v67, v14, s16, -v15
	v_mul_f16_e32 v23, 0xb836, v23
	v_fma_f16 v14, v14, s16, v15
	v_add_f16_e32 v13, v14, v13
	v_fma_f16 v14, v22, s16, -v23
	v_add_f16_e32 v66, v72, v66
	v_fma_f16 v72, v22, s6, v68
	v_fma_f16 v68, v22, s16, v23
	v_add_f16_e32 v12, v14, v12
	v_add_f16_e32 v14, v9, v6
	v_add_f16_sdwa v15, v9, v6 dst_sel:DWORD dst_unused:UNUSED_PAD src0_sel:WORD_1 src1_sel:WORD_1
	v_sub_f16_e32 v22, v6, v9
	v_sub_f16_sdwa v6, v6, v9 dst_sel:DWORD dst_unused:UNUSED_PAD src0_sel:WORD_1 src1_sel:WORD_1
	v_mul_f16_e32 v9, 0xbbf7, v6
	v_fma_f16 v23, v14, s6, -v9
	v_add_f16_e32 v23, v23, v24
	v_mul_f16_e32 v24, 0xbbf7, v22
	v_fma_f16 v9, v14, s6, v9
	v_add_f16_e32 v9, v9, v19
	v_fma_f16 v19, v15, s6, -v24
	v_add_f16_e32 v19, v19, v20
	v_mul_f16_e32 v20, 0xb1e1, v6
	v_add_f16_e32 v67, v67, v69
	v_fma_f16 v69, v15, s6, v24
	v_fma_f16 v24, v14, s17, -v20
	v_add_f16_e32 v24, v24, v25
	v_mul_f16_e32 v25, 0xb1e1, v22
	v_fma_f16 v20, v14, s17, v20
	v_add_f16_e32 v27, v69, v27
	v_fma_f16 v69, v15, s17, v25
	v_add_f16_e32 v20, v20, v21
	v_fma_f16 v21, v15, s17, -v25
	v_mul_f16_e32 v25, 0x3bb2, v6
	v_add_f16_e32 v21, v21, v26
	v_fma_f16 v26, v14, s13, -v25
	v_add_f16_e32 v26, v26, v48
	v_mul_f16_e32 v48, 0x3bb2, v22
	v_fma_f16 v25, v14, s13, v25
	v_add_f16_e32 v50, v69, v50
	v_fma_f16 v69, v15, s13, v48
	v_add_f16_e32 v25, v25, v47
	v_fma_f16 v47, v15, s13, -v48
	v_mul_f16_e32 v48, 0x35c8, v6
	v_add_f16_e32 v47, v47, v49
	;; [unrolled: 10-line block ×5, first 2 shown]
	v_fma_f16 v61, v14, s15, -v60
	v_add_f16_e32 v61, v61, v64
	v_mul_f16_e32 v64, 0x3a62, v22
	v_fma_f16 v60, v14, s15, v60
	v_mul_f16_e32 v6, 0x3964, v6
	v_add_f16_e32 v66, v69, v66
	v_fma_f16 v69, v15, s15, v64
	v_add_f16_e32 v60, v60, v63
	v_fma_f16 v63, v15, s15, -v64
	v_fma_f16 v64, v14, s12, -v6
	v_mul_f16_e32 v22, 0x3964, v22
	v_fma_f16 v6, v14, s12, v6
	v_add_f16_e32 v6, v6, v13
	v_fma_f16 v13, v15, s12, -v22
	v_add_f16_e32 v63, v63, v65
	v_fma_f16 v65, v15, s12, v22
	v_add_f16_e32 v12, v13, v12
	v_add_f16_e32 v13, v8, v7
	v_add_f16_sdwa v14, v8, v7 dst_sel:DWORD dst_unused:UNUSED_PAD src0_sel:WORD_1 src1_sel:WORD_1
	v_sub_f16_e32 v15, v7, v8
	v_sub_f16_sdwa v7, v7, v8 dst_sel:DWORD dst_unused:UNUSED_PAD src0_sel:WORD_1 src1_sel:WORD_1
	v_mul_f16_e32 v8, 0xbbb2, v7
	v_fma_f16 v22, v13, s13, -v8
	v_add_f16_e32 v22, v22, v23
	v_mul_f16_e32 v23, 0xbbb2, v15
	v_fma_f16 v8, v13, s13, v8
	v_add_f16_e32 v8, v8, v9
	v_fma_f16 v9, v14, s13, -v23
	v_add_f16_e32 v9, v9, v19
	v_mul_f16_e32 v19, 0x3836, v7
	v_add_f16_e32 v64, v64, v67
	v_fma_f16 v67, v14, s13, v23
	v_fma_f16 v23, v13, s16, -v19
	v_add_f16_e32 v23, v23, v24
	v_mul_f16_e32 v24, 0x3836, v15
	v_fma_f16 v19, v13, s16, v19
	v_add_f16_e32 v19, v19, v20
	v_fma_f16 v20, v14, s16, -v24
	v_add_f16_e32 v20, v20, v21
	v_mul_f16_e32 v21, 0x3964, v7
	v_add_f16_e32 v27, v67, v27
	v_fma_f16 v67, v14, s16, v24
	v_fma_f16 v24, v13, s12, -v21
	v_add_f16_e32 v24, v24, v26
	v_mul_f16_e32 v26, 0x3964, v15
	v_fma_f16 v21, v13, s12, v21
	v_add_f16_e32 v50, v67, v50
	v_fma_f16 v67, v14, s12, v26
	v_add_f16_e32 v21, v21, v25
	v_fma_f16 v25, v14, s12, -v26
	v_mul_f16_e32 v26, 0xbb29, v7
	v_add_f16_e32 v25, v25, v47
	v_fma_f16 v47, v13, s7, -v26
	v_add_f16_e32 v47, v47, v49
	v_mul_f16_e32 v49, 0xbb29, v15
	v_fma_f16 v26, v13, s7, v26
	v_add_f16_e32 v54, v67, v54
	v_fma_f16 v67, v14, s7, v49
	v_add_f16_e32 v26, v26, v48
	v_fma_f16 v48, v14, s7, -v49
	v_mul_f16_e32 v49, 0xb1e1, v7
	v_add_f16_e32 v48, v48, v51
	;; [unrolled: 10-line block ×4, first 2 shown]
	v_fma_f16 v59, v13, s14, -v57
	v_add_f16_e32 v59, v59, v61
	v_mul_f16_e32 v61, 0xb5c8, v15
	v_fma_f16 v57, v13, s14, v57
	v_mul_f16_e32 v7, 0xba62, v7
	v_add_f16_e32 v66, v67, v66
	v_fma_f16 v67, v14, s14, v61
	v_add_f16_e32 v57, v57, v60
	v_fma_f16 v60, v14, s14, -v61
	v_fma_f16 v61, v13, s15, -v7
	v_mul_f16_e32 v15, 0xba62, v15
	v_fma_f16 v7, v13, s15, v7
	v_add_f16_e32 v6, v7, v6
	v_fma_f16 v7, v14, s15, -v15
	v_add_f16_e32 v60, v60, v63
	v_fma_f16 v63, v14, s15, v15
	v_add_f16_e32 v7, v7, v12
	v_add_f16_e32 v12, v5, v2
	v_add_f16_sdwa v13, v5, v2 dst_sel:DWORD dst_unused:UNUSED_PAD src0_sel:WORD_1 src1_sel:WORD_1
	v_sub_f16_e32 v14, v2, v5
	v_sub_f16_sdwa v2, v2, v5 dst_sel:DWORD dst_unused:UNUSED_PAD src0_sel:WORD_1 src1_sel:WORD_1
	v_mul_f16_e32 v5, 0xba62, v2
	v_fma_f16 v15, v12, s15, -v5
	v_add_f16_e32 v15, v15, v22
	v_mul_f16_e32 v22, 0xba62, v14
	v_fma_f16 v5, v12, s15, v5
	v_add_f16_e32 v5, v5, v8
	v_fma_f16 v8, v13, s15, -v22
	v_add_f16_e32 v8, v8, v9
	v_mul_f16_e32 v9, 0x3bb2, v2
	v_add_f16_e32 v61, v61, v64
	v_fma_f16 v64, v13, s15, v22
	v_fma_f16 v22, v12, s13, -v9
	v_add_f16_e32 v22, v22, v23
	v_mul_f16_e32 v23, 0x3bb2, v14
	v_fma_f16 v9, v12, s13, v9
	v_add_f16_e32 v9, v9, v19
	v_fma_f16 v19, v13, s13, -v23
	v_add_f16_e32 v19, v19, v20
	v_mul_f16_e32 v20, 0xb5c8, v2
	v_add_f16_e32 v27, v64, v27
	v_fma_f16 v64, v13, s13, v23
	v_fma_f16 v23, v12, s14, -v20
	v_add_f16_e32 v23, v23, v24
	v_mul_f16_e32 v24, 0xb5c8, v14
	v_fma_f16 v20, v12, s14, v20
	v_add_f16_e32 v50, v64, v50
	v_fma_f16 v64, v13, s14, v24
	v_add_f16_e32 v20, v20, v21
	v_fma_f16 v21, v13, s14, -v24
	v_mul_f16_e32 v24, 0xb836, v2
	v_add_f16_e32 v21, v21, v25
	v_fma_f16 v25, v12, s16, -v24
	v_add_f16_e32 v25, v25, v47
	v_mul_f16_e32 v47, 0xb836, v14
	v_fma_f16 v24, v12, s16, v24
	v_add_f16_e32 v54, v64, v54
	v_fma_f16 v64, v13, s16, v47
	v_add_f16_e32 v24, v24, v26
	v_fma_f16 v26, v13, s16, -v47
	v_mul_f16_e32 v47, 0x3bf7, v2
	v_add_f16_e32 v26, v26, v48
	;; [unrolled: 10-line block ×4, first 2 shown]
	v_add_f16_e32 v53, v53, v56
	v_fma_f16 v56, v12, s17, -v55
	v_add_f16_e32 v65, v65, v68
	v_add_f16_e32 v56, v56, v59
	v_mul_f16_e32 v59, 0xb1e1, v14
	v_fma_f16 v55, v12, s17, v55
	v_mul_f16_e32 v2, 0x3b29, v2
	v_add_f16_e32 v63, v63, v65
	v_fma_f16 v65, v13, s17, v59
	v_add_f16_e32 v55, v55, v57
	v_fma_f16 v57, v13, s17, -v59
	v_fma_f16 v59, v12, s7, -v2
	v_mul_f16_e32 v14, 0x3b29, v14
	v_fma_f16 v2, v12, s7, v2
	v_add_f16_e32 v2, v2, v6
	v_fma_f16 v6, v13, s7, -v14
	v_add_f16_e32 v57, v57, v60
	v_fma_f16 v60, v13, s7, v14
	v_add_f16_e32 v6, v6, v7
	v_add_f16_e32 v7, v4, v3
	v_add_f16_sdwa v12, v4, v3 dst_sel:DWORD dst_unused:UNUSED_PAD src0_sel:WORD_1 src1_sel:WORD_1
	v_sub_f16_e32 v13, v3, v4
	v_sub_f16_sdwa v3, v3, v4 dst_sel:DWORD dst_unused:UNUSED_PAD src0_sel:WORD_1 src1_sel:WORD_1
	v_mul_f16_e32 v4, 0xb836, v3
	v_fma_f16 v14, v7, s16, -v4
	v_add_f16_e32 v14, v14, v15
	v_mul_f16_e32 v15, 0xb836, v13
	v_fma_f16 v4, v7, s16, v4
	v_add_f16_e32 v4, v4, v5
	v_fma_f16 v5, v12, s16, -v15
	v_add_f16_e32 v5, v5, v8
	v_mul_f16_e32 v8, 0x3b29, v3
	v_add_f16_e32 v59, v59, v61
	v_fma_f16 v61, v12, s16, v15
	v_fma_f16 v15, v7, s7, -v8
	v_add_f16_e32 v15, v15, v22
	v_mul_f16_e32 v22, 0x3b29, v13
	v_fma_f16 v8, v7, s7, v8
	v_add_f16_e32 v8, v8, v9
	v_fma_f16 v9, v12, s7, -v22
	v_add_f16_e32 v9, v9, v19
	v_mul_f16_e32 v19, 0xbbf7, v3
	v_add_f16_e32 v27, v61, v27
	v_fma_f16 v61, v12, s7, v22
	;; [unrolled: 10-line block ×3, first 2 shown]
	v_fma_f16 v23, v7, s15, -v21
	v_add_f16_e32 v23, v23, v25
	v_mul_f16_e32 v25, 0x3a62, v13
	v_fma_f16 v21, v7, s15, v21
	v_add_f16_e32 v54, v61, v54
	v_fma_f16 v61, v12, s15, v25
	v_add_f16_e32 v21, v21, v24
	v_fma_f16 v24, v12, s15, -v25
	v_mul_f16_e32 v25, 0xb5c8, v3
	v_add_f16_e32 v24, v24, v26
	v_fma_f16 v26, v7, s14, -v25
	v_add_f16_e32 v26, v26, v48
	v_mul_f16_e32 v48, 0xb5c8, v13
	v_fma_f16 v25, v7, s14, v25
	v_add_f16_e32 v58, v61, v58
	v_fma_f16 v61, v12, s14, v48
	v_add_f16_e32 v25, v25, v47
	v_fma_f16 v47, v12, s14, -v48
	v_mul_f16_e32 v48, 0xb1e1, v3
	v_add_f16_e32 v47, v47, v49
	;; [unrolled: 10-line block ×3, first 2 shown]
	v_fma_f16 v53, v7, s12, -v52
	v_add_f16_e32 v53, v53, v56
	v_mul_f16_e32 v56, 0x3964, v13
	v_fma_f16 v52, v7, s12, v52
	v_mul_f16_e32 v3, 0xbbb2, v3
	v_add_f16_e32 v60, v60, v63
	v_fma_f16 v63, v12, s12, v56
	v_add_f16_e32 v52, v52, v55
	v_fma_f16 v55, v12, s12, -v56
	v_fma_f16 v56, v7, s13, -v3
	v_mul_f16_e32 v13, 0xbbb2, v13
	v_fma_f16 v3, v7, s13, v3
	v_add_f16_e32 v2, v3, v2
	v_fma_f16 v3, v12, s13, -v13
	v_add_f16_e32 v55, v55, v57
	v_fma_f16 v57, v12, s13, v13
	v_add_f16_e32 v3, v3, v6
	v_add_f16_e32 v6, v1, v0
	v_add_f16_sdwa v7, v1, v0 dst_sel:DWORD dst_unused:UNUSED_PAD src0_sel:WORD_1 src1_sel:WORD_1
	v_sub_f16_e32 v12, v0, v1
	v_sub_f16_sdwa v0, v0, v1 dst_sel:DWORD dst_unused:UNUSED_PAD src0_sel:WORD_1 src1_sel:WORD_1
	v_mul_f16_e32 v1, 0xb1e1, v0
	v_fma_f16 v13, v6, s17, -v1
	v_add_f16_e32 v13, v13, v14
	v_mul_f16_e32 v14, 0xb1e1, v12
	v_fma_f16 v1, v6, s17, v1
	v_add_f16_e32 v1, v1, v4
	v_fma_f16 v4, v7, s17, -v14
	v_add_f16_e32 v4, v4, v5
	v_mul_f16_e32 v5, 0x35c8, v0
	v_add_f16_e32 v56, v56, v59
	v_fma_f16 v59, v7, s17, v14
	v_fma_f16 v14, v6, s14, -v5
	v_add_f16_e32 v14, v14, v15
	v_mul_f16_e32 v15, 0x35c8, v12
	v_fma_f16 v5, v6, s14, v5
	v_add_f16_e32 v5, v5, v8
	v_fma_f16 v8, v7, s14, -v15
	v_add_f16_e32 v8, v8, v9
	v_mul_f16_e32 v9, 0xb836, v0
	v_add_f16_e32 v27, v59, v27
	v_fma_f16 v59, v7, s14, v15
	;; [unrolled: 10-line block ×3, first 2 shown]
	v_fma_f16 v22, v6, s12, -v20
	v_add_f16_e32 v22, v22, v23
	v_mul_f16_e32 v23, 0x3964, v12
	v_fma_f16 v20, v6, s12, v20
	v_add_f16_e32 v54, v59, v54
	v_fma_f16 v59, v7, s12, v23
	v_add_f16_e32 v20, v20, v21
	v_fma_f16 v21, v7, s12, -v23
	v_mul_f16_e32 v23, 0xba62, v0
	v_add_f16_e32 v21, v21, v24
	v_fma_f16 v24, v6, s15, -v23
	v_add_f16_e32 v24, v24, v26
	v_mul_f16_e32 v26, 0xba62, v12
	v_fma_f16 v23, v6, s15, v23
	v_add_f16_e32 v58, v59, v58
	v_fma_f16 v59, v7, s15, v26
	v_add_f16_e32 v23, v23, v25
	v_fma_f16 v25, v7, s15, -v26
	v_mul_f16_e32 v26, 0x3b29, v0
	v_add_f16_e32 v25, v25, v47
	v_fma_f16 v47, v6, s7, -v26
	v_add_f16_e32 v49, v47, v49
	v_mul_f16_e32 v47, 0x3b29, v12
	v_add_f16_e32 v57, v57, v60
	v_fma_f16 v60, v7, s7, v47
	v_fma_f16 v26, v6, s7, v26
	v_fma_f16 v47, v7, s7, -v47
	v_add_f16_e32 v26, v26, v48
	v_add_f16_e32 v48, v47, v51
	v_mul_f16_e32 v47, 0xbbb2, v0
	v_fma_f16 v51, v6, s13, -v47
	v_add_f16_e32 v51, v51, v53
	v_mul_f16_e32 v53, 0xbbb2, v12
	v_fma_f16 v47, v6, s13, v47
	v_add_f16_e32 v70, v74, v70
	v_add_f16_e32 v52, v47, v52
	v_fma_f16 v47, v7, s13, -v53
	v_mul_f16_e32 v0, 0x3bf7, v0
	v_add_f16_e32 v70, v72, v70
	v_add_f16_e32 v59, v59, v61
	v_fma_f16 v61, v7, s13, v53
	v_add_f16_e32 v53, v47, v55
	v_fma_f16 v47, v6, s6, -v0
	v_mul_f16_e32 v12, 0x3bf7, v12
	v_fma_f16 v0, v6, s6, v0
	v_add_f16_e32 v69, v69, v70
	v_add_f16_e32 v0, v0, v2
	v_fma_f16 v2, v7, s6, -v12
	v_add_f16_e32 v67, v67, v69
	v_add_f16_e32 v64, v64, v66
	;; [unrolled: 1-line block ×3, first 2 shown]
	v_fma_f16 v47, v7, s6, v12
	v_add_f16_e32 v2, v2, v3
	v_mul_lo_u16_e32 v3, 17, v45
	v_add_f16_e32 v65, v65, v67
	v_add_f16_e32 v62, v62, v64
	;; [unrolled: 1-line block ×3, first 2 shown]
	v_lshl_add_u32 v47, v3, 2, v10
	v_pack_b32_f16 v3, v14, v50
	v_pack_b32_f16 v6, v13, v27
	v_add_f16_e32 v63, v63, v65
	v_add_f16_e32 v60, v60, v62
	s_barrier
	ds_write2_b32 v47, v6, v3 offset0:1 offset1:2
	v_pack_b32_f16 v3, v22, v58
	v_pack_b32_f16 v6, v15, v54
	v_add_f16_e32 v61, v61, v63
	ds_write2_b32 v47, v6, v3 offset0:3 offset1:4
	v_pack_b32_f16 v3, v49, v60
	v_pack_b32_f16 v6, v24, v59
	ds_write2_b32 v47, v6, v3 offset0:5 offset1:6
	v_pack_b32_f16 v3, v55, v56
	v_pack_b32_f16 v6, v51, v61
	;; [unrolled: 3-line block ×6, first 2 shown]
	v_lshlrev_b32_e32 v19, 6, v45
	ds_write_b32 v47, v11
	ds_write2_b32 v47, v1, v0 offset0:15 offset1:16
	s_waitcnt lgkmcnt(0)
	s_barrier
	global_load_dwordx4 v[0:3], v19, s[2:3]
	global_load_dwordx4 v[4:7], v19, s[2:3] offset:16
	global_load_dwordx4 v[8:11], v19, s[2:3] offset:32
	;; [unrolled: 1-line block ×3, first 2 shown]
	ds_read2_b32 v[48:49], v28 offset1:17
	ds_read2_b32 v[20:21], v28 offset0:34 offset1:51
	ds_read2_b32 v[22:23], v28 offset0:68 offset1:85
	;; [unrolled: 1-line block ×4, first 2 shown]
	s_waitcnt lgkmcnt(4)
	v_lshrrev_b32_e32 v19, 16, v49
	s_waitcnt lgkmcnt(3)
	v_lshrrev_b32_e32 v56, 16, v20
	v_lshrrev_b32_e32 v57, 16, v21
	s_waitcnt lgkmcnt(2)
	v_lshrrev_b32_e32 v58, 16, v22
	;; [unrolled: 3-line block ×3, first 2 shown]
	v_lshrrev_b32_e32 v61, 16, v25
	ds_read2_b32 v[50:51], v28 offset0:170 offset1:187
	s_waitcnt lgkmcnt(1)
	v_lshrrev_b32_e32 v62, 16, v26
	v_lshrrev_b32_e32 v63, 16, v27
	ds_read2_b32 v[52:53], v28 offset0:204 offset1:221
	ds_read2_b32 v[54:55], v28 offset0:238 offset1:255
	s_waitcnt lgkmcnt(2)
	v_lshrrev_b32_e32 v64, 16, v50
	v_lshrrev_b32_e32 v65, 16, v51
	ds_read_b32 v66, v28 offset:1088
	s_waitcnt lgkmcnt(2)
	v_lshrrev_b32_e32 v67, 16, v52
	v_lshrrev_b32_e32 v68, 16, v53
	s_waitcnt lgkmcnt(1)
	v_lshrrev_b32_e32 v69, 16, v54
	v_lshrrev_b32_e32 v70, 16, v55
	s_waitcnt lgkmcnt(0)
	v_lshrrev_b32_e32 v71, 16, v66
	s_mov_b32 s2, 0xbbf7
	s_mov_b32 s3, 0xbbb2
	s_waitcnt vmcnt(3)
	v_mul_f16_sdwa v72, v19, v0 dst_sel:DWORD dst_unused:UNUSED_PAD src0_sel:DWORD src1_sel:WORD_1
	v_fma_f16 v72, v49, v0, -v72
	v_mul_f16_sdwa v49, v49, v0 dst_sel:DWORD dst_unused:UNUSED_PAD src0_sel:DWORD src1_sel:WORD_1
	v_fma_f16 v49, v19, v0, v49
	v_mul_f16_sdwa v19, v56, v1 dst_sel:DWORD dst_unused:UNUSED_PAD src0_sel:DWORD src1_sel:WORD_1
	v_fma_f16 v73, v20, v1, -v19
	v_mul_f16_sdwa v19, v20, v1 dst_sel:DWORD dst_unused:UNUSED_PAD src0_sel:DWORD src1_sel:WORD_1
	v_fma_f16 v56, v56, v1, v19
	v_mul_f16_sdwa v19, v57, v2 dst_sel:DWORD dst_unused:UNUSED_PAD src0_sel:DWORD src1_sel:WORD_1
	v_fma_f16 v74, v21, v2, -v19
	v_mul_f16_sdwa v19, v21, v2 dst_sel:DWORD dst_unused:UNUSED_PAD src0_sel:DWORD src1_sel:WORD_1
	v_fma_f16 v57, v57, v2, v19
	v_mul_f16_sdwa v19, v58, v3 dst_sel:DWORD dst_unused:UNUSED_PAD src0_sel:DWORD src1_sel:WORD_1
	v_fma_f16 v75, v22, v3, -v19
	v_mul_f16_sdwa v19, v22, v3 dst_sel:DWORD dst_unused:UNUSED_PAD src0_sel:DWORD src1_sel:WORD_1
	v_fma_f16 v58, v58, v3, v19
	s_waitcnt vmcnt(2)
	v_mul_f16_sdwa v19, v59, v4 dst_sel:DWORD dst_unused:UNUSED_PAD src0_sel:DWORD src1_sel:WORD_1
	v_fma_f16 v76, v23, v4, -v19
	v_mul_f16_sdwa v19, v23, v4 dst_sel:DWORD dst_unused:UNUSED_PAD src0_sel:DWORD src1_sel:WORD_1
	v_fma_f16 v59, v59, v4, v19
	v_mul_f16_sdwa v19, v60, v5 dst_sel:DWORD dst_unused:UNUSED_PAD src0_sel:DWORD src1_sel:WORD_1
	v_fma_f16 v77, v24, v5, -v19
	v_mul_f16_sdwa v19, v24, v5 dst_sel:DWORD dst_unused:UNUSED_PAD src0_sel:DWORD src1_sel:WORD_1
	v_fma_f16 v60, v60, v5, v19
	v_mul_f16_sdwa v19, v61, v6 dst_sel:DWORD dst_unused:UNUSED_PAD src0_sel:DWORD src1_sel:WORD_1
	v_fma_f16 v24, v25, v6, -v19
	v_mul_f16_sdwa v19, v25, v6 dst_sel:DWORD dst_unused:UNUSED_PAD src0_sel:DWORD src1_sel:WORD_1
	v_fma_f16 v25, v61, v6, v19
	v_mul_f16_sdwa v19, v62, v7 dst_sel:DWORD dst_unused:UNUSED_PAD src0_sel:DWORD src1_sel:WORD_1
	v_fma_f16 v20, v26, v7, -v19
	v_mul_f16_sdwa v19, v26, v7 dst_sel:DWORD dst_unused:UNUSED_PAD src0_sel:DWORD src1_sel:WORD_1
	v_fma_f16 v21, v62, v7, v19
	;; [unrolled: 17-line block ×4, first 2 shown]
	v_add_f16_e32 v19, v72, v48
	v_add_f16_sdwa v67, v49, v48 dst_sel:DWORD dst_unused:UNUSED_PAD src0_sel:DWORD src1_sel:WORD_1
	v_add_f16_e32 v19, v19, v73
	v_add_f16_e32 v67, v67, v56
	;; [unrolled: 1-line block ×29, first 2 shown]
	v_add_f16_sdwa v67, v67, v66 dst_sel:WORD_1 dst_unused:UNUSED_PAD src0_sel:DWORD src1_sel:DWORD
	v_or_b32_e32 v19, v67, v19
	v_add_f16_e32 v67, v72, v65
	v_add_f16_e32 v68, v49, v66
	v_sub_f16_e32 v65, v72, v65
	v_sub_f16_e32 v49, v49, v66
	v_mul_f16_e32 v66, 0xb5c8, v49
	v_mul_f16_e32 v70, 0xb5c8, v65
	;; [unrolled: 1-line block ×16, first 2 shown]
	v_fma_f16 v69, v67, s14, -v66
	v_fma_f16 v71, v68, s14, v70
	v_fma_f16 v66, v67, s14, v66
	v_fma_f16 v70, v68, s14, -v70
	v_fma_f16 v78, v67, s12, -v72
	v_fma_f16 v80, v68, s12, v79
	v_fma_f16 v72, v67, s12, v72
	v_fma_f16 v79, v68, s12, -v79
	;; [unrolled: 4-line block ×8, first 2 shown]
	v_add_f16_e32 v67, v56, v55
	v_sub_f16_e32 v55, v56, v55
	v_add_f16_e32 v69, v69, v48
	v_add_f16_sdwa v71, v71, v48 dst_sel:DWORD dst_unused:UNUSED_PAD src0_sel:DWORD src1_sel:WORD_1
	v_add_f16_e32 v66, v66, v48
	v_add_f16_sdwa v70, v70, v48 dst_sel:DWORD dst_unused:UNUSED_PAD src0_sel:DWORD src1_sel:WORD_1
	;; [unrolled: 2-line block ×16, first 2 shown]
	v_add_f16_e32 v65, v73, v64
	v_mul_f16_e32 v56, 0xb964, v55
	v_sub_f16_e32 v64, v73, v64
	v_fma_f16 v68, v65, s12, -v56
	v_add_f16_e32 v68, v68, v69
	v_mul_f16_e32 v69, 0xb964, v64
	v_fma_f16 v56, v65, s12, v56
	v_fma_f16 v73, v67, s12, v69
	v_add_f16_e32 v56, v56, v66
	v_fma_f16 v66, v67, s12, -v69
	v_mul_f16_e32 v69, 0xbbf7, v55
	v_add_f16_e32 v71, v73, v71
	v_add_f16_e32 v66, v66, v70
	v_fma_f16 v70, v65, s6, -v69
	v_mul_f16_e32 v73, 0xbbf7, v64
	v_fma_f16 v69, v65, s6, v69
	v_add_f16_e32 v70, v70, v78
	v_fma_f16 v78, v67, s6, v73
	v_add_f16_e32 v69, v69, v72
	v_fma_f16 v72, v67, s6, -v73
	v_mul_f16_e32 v73, 0xba62, v55
	v_add_f16_e32 v78, v78, v80
	v_add_f16_e32 v72, v72, v79
	v_fma_f16 v79, v65, s15, -v73
	v_mul_f16_e32 v80, 0xba62, v64
	v_fma_f16 v73, v65, s15, v73
	v_add_f16_e32 v79, v79, v82
	;; [unrolled: 10-line block ×5, first 2 shown]
	v_fma_f16 v94, v67, s13, v92
	v_add_f16_e32 v89, v89, v93
	v_fma_f16 v92, v67, s13, -v92
	v_mul_f16_e32 v93, 0x3b29, v55
	v_add_f16_e32 v94, v94, v96
	v_add_f16_e32 v92, v92, v95
	v_fma_f16 v95, v65, s7, -v93
	v_mul_f16_e32 v96, 0x3b29, v64
	v_fma_f16 v93, v65, s7, v93
	v_mul_f16_e32 v55, 0x35c8, v55
	v_add_f16_e32 v95, v95, v98
	v_fma_f16 v98, v67, s7, v96
	v_add_f16_e32 v93, v93, v97
	v_fma_f16 v96, v67, s7, -v96
	v_fma_f16 v97, v65, s14, -v55
	v_mul_f16_e32 v64, 0x35c8, v64
	v_fma_f16 v55, v65, s14, v55
	v_add_f16_e32 v96, v96, v99
	v_fma_f16 v99, v67, s14, v64
	v_add_f16_e32 v49, v55, v49
	v_fma_f16 v55, v67, s14, -v64
	v_add_f16_e32 v64, v57, v54
	v_sub_f16_e32 v54, v57, v54
	v_add_f16_e32 v48, v55, v48
	v_add_f16_e32 v55, v74, v63
	v_sub_f16_e32 v63, v74, v63
	v_mul_f16_e32 v57, 0xbb29, v54
	v_fma_f16 v65, v55, s7, -v57
	v_mul_f16_e32 v67, 0xbb29, v63
	v_fma_f16 v57, v55, s7, v57
	v_add_f16_e32 v56, v57, v56
	v_fma_f16 v57, v64, s7, -v67
	v_add_f16_e32 v57, v57, v66
	v_mul_f16_e32 v66, 0xba62, v54
	v_add_f16_e32 v65, v65, v68
	v_fma_f16 v68, v64, s7, v67
	v_fma_f16 v67, v55, s15, -v66
	v_add_f16_e32 v67, v67, v70
	v_mul_f16_e32 v70, 0xba62, v63
	v_fma_f16 v66, v55, s15, v66
	v_add_f16_e32 v68, v68, v71
	v_fma_f16 v71, v64, s15, v70
	v_add_f16_e32 v66, v66, v69
	v_fma_f16 v69, v64, s15, -v70
	v_mul_f16_e32 v70, 0x31e1, v54
	v_add_f16_e32 v69, v69, v72
	v_fma_f16 v72, v55, s17, -v70
	v_mul_f16_e32 v74, 0x31e1, v63
	v_fma_f16 v70, v55, s17, v70
	v_add_f16_e32 v71, v71, v78
	v_fma_f16 v78, v64, s17, v74
	v_add_f16_e32 v70, v70, v73
	v_fma_f16 v73, v64, s17, -v74
	v_mul_f16_e32 v74, 0x3bb2, v54
	v_add_f16_e32 v72, v72, v79
	v_fma_f16 v79, v55, s13, -v74
	v_fma_f16 v74, v55, s13, v74
	v_add_f16_e32 v73, v73, v80
	v_mul_f16_e32 v80, 0x3bb2, v63
	v_add_f16_e32 v74, v74, v81
	v_mul_f16_e32 v81, 0x3964, v54
	v_add_f16_e32 v78, v78, v82
	v_add_f16_e32 v79, v79, v83
	v_fma_f16 v82, v64, s13, v80
	v_fma_f16 v80, v64, s13, -v80
	v_fma_f16 v83, v55, s12, -v81
	v_fma_f16 v81, v55, s12, v81
	v_add_f16_e32 v80, v80, v84
	v_mul_f16_e32 v84, 0x3964, v63
	v_add_f16_e32 v81, v81, v85
	v_mul_f16_e32 v85, 0xb5c8, v54
	v_add_f16_e32 v82, v82, v86
	v_add_f16_e32 v83, v83, v87
	v_fma_f16 v86, v64, s12, v84
	v_fma_f16 v84, v64, s12, -v84
	;; [unrolled: 10-line block ×3, first 2 shown]
	v_fma_f16 v91, v55, s6, -v89
	v_fma_f16 v89, v55, s6, v89
	v_mul_f16_e32 v54, 0xb836, v54
	v_add_f16_e32 v88, v88, v92
	v_mul_f16_e32 v92, 0xbbf7, v63
	v_add_f16_e32 v89, v89, v93
	v_fma_f16 v93, v55, s16, -v54
	v_mul_f16_e32 v63, 0xb836, v63
	v_fma_f16 v54, v55, s16, v54
	v_add_f16_e32 v49, v54, v49
	v_fma_f16 v54, v64, s16, -v63
	v_add_f16_e32 v55, v58, v53
	v_sub_f16_e32 v53, v58, v53
	v_add_f16_e32 v48, v54, v48
	v_add_f16_e32 v54, v75, v62
	v_sub_f16_e32 v62, v75, v62
	v_mul_f16_e32 v58, 0xbbf7, v53
	v_add_f16_e32 v90, v90, v94
	v_add_f16_e32 v91, v91, v95
	v_fma_f16 v94, v64, s6, v92
	v_fma_f16 v92, v64, s6, -v92
	v_fma_f16 v95, v64, s16, v63
	v_fma_f16 v63, v54, s6, -v58
	v_mul_f16_e32 v64, 0xbbf7, v62
	v_fma_f16 v58, v54, s6, v58
	v_add_f16_e32 v56, v58, v56
	v_fma_f16 v58, v55, s6, -v64
	v_add_f16_e32 v57, v58, v57
	v_mul_f16_e32 v58, 0xb1e1, v53
	v_add_f16_e32 v63, v63, v65
	v_fma_f16 v65, v55, s6, v64
	v_fma_f16 v64, v54, s17, -v58
	v_add_f16_e32 v64, v64, v67
	v_mul_f16_e32 v67, 0xb1e1, v62
	v_fma_f16 v58, v54, s17, v58
	v_add_f16_e32 v65, v65, v68
	v_fma_f16 v68, v55, s17, v67
	v_add_f16_e32 v58, v58, v66
	v_fma_f16 v66, v55, s17, -v67
	v_mul_f16_e32 v67, 0x3bb2, v53
	v_add_f16_e32 v68, v68, v71
	v_add_f16_e32 v66, v66, v69
	v_fma_f16 v69, v54, s13, -v67
	v_mul_f16_e32 v71, 0x3bb2, v62
	v_fma_f16 v67, v54, s13, v67
	v_add_f16_e32 v69, v69, v72
	v_fma_f16 v72, v55, s13, v71
	v_add_f16_e32 v67, v67, v70
	v_fma_f16 v70, v55, s13, -v71
	v_mul_f16_e32 v71, 0x35c8, v53
	v_add_f16_e32 v70, v70, v73
	v_fma_f16 v73, v54, s14, -v71
	v_mul_f16_e32 v75, 0x35c8, v62
	v_fma_f16 v71, v54, s14, v71
	v_add_f16_e32 v72, v72, v78
	v_fma_f16 v78, v55, s14, v75
	v_add_f16_e32 v71, v71, v74
	v_fma_f16 v74, v55, s14, -v75
	v_mul_f16_e32 v75, 0xbb29, v53
	v_add_f16_e32 v73, v73, v79
	v_fma_f16 v79, v54, s7, -v75
	v_fma_f16 v75, v54, s7, v75
	v_add_f16_e32 v74, v74, v80
	v_mul_f16_e32 v80, 0xbb29, v62
	v_add_f16_e32 v75, v75, v81
	v_mul_f16_e32 v81, 0xb836, v53
	v_add_f16_e32 v78, v78, v82
	v_add_f16_e32 v79, v79, v83
	v_fma_f16 v82, v55, s7, v80
	v_fma_f16 v80, v55, s7, -v80
	v_fma_f16 v83, v54, s16, -v81
	v_fma_f16 v81, v54, s16, v81
	v_add_f16_e32 v80, v80, v84
	v_mul_f16_e32 v84, 0xb836, v62
	v_add_f16_e32 v81, v81, v85
	v_mul_f16_e32 v85, 0x3a62, v53
	v_add_f16_e32 v82, v82, v86
	v_add_f16_e32 v83, v83, v87
	v_fma_f16 v86, v55, s16, v84
	v_fma_f16 v84, v55, s16, -v84
	v_fma_f16 v87, v54, s15, -v85
	v_fma_f16 v85, v54, s15, v85
	v_mul_f16_e32 v53, 0x3964, v53
	v_add_f16_e32 v84, v84, v88
	v_mul_f16_e32 v88, 0x3a62, v62
	v_add_f16_e32 v85, v85, v89
	v_fma_f16 v89, v54, s12, -v53
	v_mul_f16_e32 v62, 0x3964, v62
	v_fma_f16 v53, v54, s12, v53
	v_add_f16_e32 v49, v53, v49
	v_fma_f16 v53, v55, s12, -v62
	v_add_f16_e32 v54, v59, v52
	v_sub_f16_e32 v52, v59, v52
	v_add_f16_e32 v86, v86, v90
	v_add_f16_e32 v87, v87, v91
	v_fma_f16 v90, v55, s15, v88
	v_fma_f16 v88, v55, s15, -v88
	v_fma_f16 v91, v55, s12, v62
	v_add_f16_e32 v48, v53, v48
	v_add_f16_e32 v53, v76, v61
	v_sub_f16_e32 v55, v76, v61
	v_mul_f16_e32 v59, 0xbbb2, v52
	v_fma_f16 v61, v53, s13, -v59
	v_mul_f16_e32 v62, 0xbbb2, v55
	v_fma_f16 v59, v53, s13, v59
	v_add_f16_e32 v56, v59, v56
	v_fma_f16 v59, v54, s13, -v62
	v_add_f16_e32 v57, v59, v57
	v_mul_f16_e32 v59, 0x3836, v52
	v_add_f16_e32 v61, v61, v63
	v_fma_f16 v63, v54, s13, v62
	v_fma_f16 v62, v53, s16, -v59
	v_add_f16_e32 v62, v62, v64
	v_mul_f16_e32 v64, 0x3836, v55
	v_fma_f16 v59, v53, s16, v59
	v_add_f16_e32 v63, v63, v65
	v_fma_f16 v65, v54, s16, v64
	v_add_f16_e32 v58, v59, v58
	v_fma_f16 v59, v54, s16, -v64
	v_mul_f16_e32 v64, 0x3964, v52
	v_add_f16_e32 v65, v65, v68
	v_add_f16_e32 v59, v59, v66
	v_fma_f16 v66, v53, s12, -v64
	v_mul_f16_e32 v68, 0x3964, v55
	v_fma_f16 v64, v53, s12, v64
	v_add_f16_e32 v66, v66, v69
	v_fma_f16 v69, v54, s12, v68
	v_add_f16_e32 v64, v64, v67
	v_fma_f16 v67, v54, s12, -v68
	v_mul_f16_e32 v68, 0xbb29, v52
	v_add_f16_e32 v69, v69, v72
	v_add_f16_e32 v67, v67, v70
	v_fma_f16 v70, v53, s7, -v68
	v_mul_f16_e32 v72, 0xbb29, v55
	v_fma_f16 v68, v53, s7, v68
	v_add_f16_e32 v70, v70, v73
	v_fma_f16 v73, v54, s7, v72
	v_add_f16_e32 v68, v68, v71
	v_fma_f16 v71, v54, s7, -v72
	v_mul_f16_e32 v72, 0xb1e1, v52
	v_add_f16_e32 v71, v71, v74
	v_fma_f16 v74, v53, s17, -v72
	v_mul_f16_e32 v76, 0xb1e1, v55
	v_fma_f16 v72, v53, s17, v72
	v_add_f16_e32 v73, v73, v78
	v_fma_f16 v78, v54, s17, v76
	v_add_f16_e32 v72, v72, v75
	v_fma_f16 v75, v54, s17, -v76
	v_mul_f16_e32 v76, 0x3bf7, v52
	v_add_f16_e32 v74, v74, v79
	v_fma_f16 v79, v53, s6, -v76
	v_fma_f16 v76, v53, s6, v76
	v_add_f16_e32 v75, v75, v80
	v_mul_f16_e32 v80, 0x3bf7, v55
	v_add_f16_e32 v76, v76, v81
	v_mul_f16_e32 v81, 0xb5c8, v52
	v_add_f16_e32 v78, v78, v82
	v_add_f16_e32 v79, v79, v83
	v_fma_f16 v82, v54, s6, v80
	v_fma_f16 v80, v54, s6, -v80
	v_fma_f16 v83, v53, s14, -v81
	v_fma_f16 v81, v53, s14, v81
	v_mul_f16_e32 v52, 0xba62, v52
	v_add_f16_e32 v80, v80, v84
	v_mul_f16_e32 v84, 0xb5c8, v55
	v_add_f16_e32 v81, v81, v85
	v_fma_f16 v85, v53, s15, -v52
	v_mul_f16_e32 v55, 0xba62, v55
	v_fma_f16 v52, v53, s15, v52
	v_add_f16_e32 v49, v52, v49
	v_fma_f16 v52, v54, s15, -v55
	v_add_f16_e32 v53, v60, v51
	v_sub_f16_e32 v51, v60, v51
	v_add_f16_e32 v82, v82, v86
	v_add_f16_e32 v83, v83, v87
	v_fma_f16 v86, v54, s14, v84
	v_fma_f16 v84, v54, s14, -v84
	v_fma_f16 v87, v54, s15, v55
	v_add_f16_e32 v48, v52, v48
	v_add_f16_e32 v52, v77, v50
	v_sub_f16_e32 v50, v77, v50
	v_mul_f16_e32 v54, 0xba62, v51
	v_fma_f16 v55, v52, s15, -v54
	v_mul_f16_e32 v60, 0xba62, v50
	v_fma_f16 v54, v52, s15, v54
	v_add_f16_e32 v54, v54, v56
	v_fma_f16 v56, v53, s15, -v60
	v_add_f16_e32 v56, v56, v57
	v_mul_f16_e32 v57, 0x3bb2, v51
	v_add_f16_e32 v55, v55, v61
	v_fma_f16 v61, v53, s15, v60
	v_fma_f16 v60, v52, s13, -v57
	v_add_f16_e32 v60, v60, v62
	v_mul_f16_e32 v62, 0x3bb2, v50
	v_fma_f16 v57, v52, s13, v57
	v_add_f16_e32 v57, v57, v58
	v_fma_f16 v58, v53, s13, -v62
	v_add_f16_e32 v61, v61, v63
	v_fma_f16 v63, v53, s13, v62
	v_add_f16_e32 v58, v58, v59
	v_mul_f16_e32 v59, 0xb5c8, v51
	v_add_f16_e32 v63, v63, v65
	v_fma_f16 v62, v52, s14, -v59
	v_mul_f16_e32 v65, 0xb5c8, v50
	v_fma_f16 v59, v52, s14, v59
	v_add_f16_e32 v62, v62, v66
	v_fma_f16 v66, v53, s14, v65
	v_add_f16_e32 v59, v59, v64
	v_fma_f16 v64, v53, s14, -v65
	v_mul_f16_e32 v65, 0xb836, v51
	v_add_f16_e32 v66, v66, v69
	v_add_f16_e32 v64, v64, v67
	v_fma_f16 v67, v52, s16, -v65
	v_mul_f16_e32 v69, 0xb836, v50
	v_fma_f16 v65, v52, s16, v65
	v_add_f16_e32 v67, v67, v70
	v_fma_f16 v70, v53, s16, v69
	v_add_f16_e32 v65, v65, v68
	v_fma_f16 v68, v53, s16, -v69
	v_mul_f16_e32 v69, 0x3bf7, v51
	v_add_f16_e32 v70, v70, v73
	;; [unrolled: 10-line block ×3, first 2 shown]
	v_fma_f16 v75, v52, s12, -v73
	v_mul_f16_e32 v77, 0xb964, v50
	v_fma_f16 v73, v52, s12, v73
	v_add_f16_e32 v74, v74, v78
	v_fma_f16 v78, v53, s12, v77
	v_add_f16_e32 v73, v73, v76
	v_fma_f16 v76, v53, s12, -v77
	v_mul_f16_e32 v77, 0xb1e1, v51
	v_add_f16_e32 v75, v75, v79
	v_fma_f16 v79, v52, s17, -v77
	v_fma_f16 v77, v52, s17, v77
	v_mul_f16_e32 v51, 0x3b29, v51
	v_add_f16_e32 v76, v76, v80
	v_mul_f16_e32 v80, 0xb1e1, v50
	v_add_f16_e32 v77, v77, v81
	v_fma_f16 v81, v52, s7, -v51
	v_mul_f16_e32 v50, 0x3b29, v50
	v_fma_f16 v51, v52, s7, v51
	v_add_f16_e32 v79, v79, v83
	v_fma_f16 v83, v53, s7, v50
	v_add_f16_e32 v49, v51, v49
	v_fma_f16 v50, v53, s7, -v50
	v_add_f16_e32 v51, v25, v27
	v_sub_f16_e32 v25, v25, v27
	v_add_f16_e32 v48, v50, v48
	v_add_f16_e32 v50, v24, v26
	v_sub_f16_e32 v24, v24, v26
	v_mul_f16_e32 v26, 0xb836, v25
	v_fma_f16 v27, v50, s16, -v26
	v_mul_f16_e32 v52, 0xb836, v24
	v_fma_f16 v26, v50, s16, v26
	v_add_f16_e32 v78, v78, v82
	v_fma_f16 v82, v53, s17, v80
	v_fma_f16 v80, v53, s17, -v80
	v_fma_f16 v53, v51, s16, v52
	v_add_f16_e32 v26, v26, v54
	v_fma_f16 v52, v51, s16, -v52
	v_mul_f16_e32 v54, 0x3b29, v25
	v_add_f16_e32 v27, v27, v55
	v_add_f16_e32 v52, v52, v56
	v_fma_f16 v55, v50, s7, -v54
	v_mul_f16_e32 v56, 0x3b29, v24
	v_fma_f16 v54, v50, s7, v54
	v_add_f16_e32 v55, v55, v60
	v_fma_f16 v60, v51, s7, v56
	v_add_f16_e32 v54, v54, v57
	v_fma_f16 v56, v51, s7, -v56
	v_mul_f16_e32 v57, 0xbbf7, v25
	v_add_f16_e32 v53, v53, v61
	v_add_f16_e32 v56, v56, v58
	v_fma_f16 v58, v50, s6, -v57
	v_mul_f16_e32 v61, 0xbbf7, v24
	v_fma_f16 v57, v50, s6, v57
	v_add_f16_e32 v58, v58, v62
	v_fma_f16 v62, v51, s6, v61
	v_add_f16_e32 v57, v57, v59
	v_fma_f16 v59, v51, s6, -v61
	v_mul_f16_e32 v61, 0x3a62, v25
	v_add_f16_e32 v60, v60, v63
	v_fma_f16 v63, v50, s15, -v61
	v_fma_f16 v61, v50, s15, v61
	v_add_f16_e32 v59, v59, v64
	v_mul_f16_e32 v64, 0x3a62, v24
	v_add_f16_e32 v61, v61, v65
	v_mul_f16_e32 v65, 0xb5c8, v25
	v_add_f16_e32 v62, v62, v66
	v_add_f16_e32 v63, v63, v67
	v_fma_f16 v66, v51, s15, v64
	v_fma_f16 v64, v51, s15, -v64
	v_fma_f16 v67, v50, s14, -v65
	v_fma_f16 v65, v50, s14, v65
	v_add_f16_e32 v64, v64, v68
	v_mul_f16_e32 v68, 0xb5c8, v24
	v_add_f16_e32 v65, v65, v69
	v_mul_f16_e32 v69, 0xb1e1, v25
	v_add_f16_e32 v66, v66, v70
	v_add_f16_e32 v67, v67, v71
	v_fma_f16 v70, v51, s14, v68
	v_fma_f16 v68, v51, s14, -v68
	;; [unrolled: 10-line block ×3, first 2 shown]
	v_fma_f16 v75, v50, s12, -v73
	v_fma_f16 v73, v50, s12, v73
	v_mul_f16_e32 v25, 0xbbb2, v25
	v_add_f16_e32 v72, v72, v76
	v_mul_f16_e32 v76, 0x3964, v24
	v_add_f16_e32 v73, v73, v77
	v_fma_f16 v77, v50, s13, -v25
	v_mul_f16_e32 v24, 0xbbb2, v24
	v_fma_f16 v25, v50, s13, v25
	v_add_f16_e32 v75, v75, v79
	v_fma_f16 v79, v51, s13, v24
	v_add_f16_e32 v25, v25, v49
	v_fma_f16 v24, v51, s13, -v24
	v_add_f16_e32 v49, v21, v23
	v_sub_f16_e32 v21, v21, v23
	v_add_f16_e32 v24, v24, v48
	v_add_f16_e32 v48, v20, v22
	v_sub_f16_e32 v20, v20, v22
	v_mul_f16_e32 v22, 0xb1e1, v21
	v_fma_f16 v23, v48, s17, -v22
	v_add_f16_e32 v23, v23, v27
	v_mul_f16_e32 v27, 0xb1e1, v20
	v_fma_f16 v22, v48, s17, v22
	v_fma_f16 v50, v49, s17, v27
	v_add_f16_e32 v22, v22, v26
	v_fma_f16 v26, v49, s17, -v27
	v_mul_f16_e32 v27, 0x35c8, v21
	v_add_f16_e32 v74, v74, v78
	v_fma_f16 v78, v51, s12, v76
	v_fma_f16 v76, v51, s12, -v76
	v_add_f16_e32 v26, v26, v52
	v_fma_f16 v51, v48, s14, -v27
	v_mul_f16_e32 v52, 0x35c8, v20
	v_fma_f16 v27, v48, s14, v27
	v_add_f16_e32 v50, v50, v53
	v_fma_f16 v53, v49, s14, v52
	v_add_f16_e32 v27, v27, v54
	v_fma_f16 v52, v49, s14, -v52
	v_mul_f16_e32 v54, 0xb836, v21
	v_add_f16_e32 v51, v51, v55
	v_add_f16_e32 v52, v52, v56
	v_fma_f16 v55, v48, s16, -v54
	v_mul_f16_e32 v56, 0xb836, v20
	v_fma_f16 v54, v48, s16, v54
	v_add_f16_e32 v53, v53, v60
	v_add_f16_e32 v55, v55, v58
	v_fma_f16 v58, v49, s16, v56
	v_add_f16_e32 v54, v54, v57
	v_fma_f16 v56, v49, s16, -v56
	v_mul_f16_e32 v57, 0x3964, v21
	v_mul_f16_e32 v60, 0x3964, v20
	v_add_f16_e32 v58, v58, v62
	v_add_f16_e32 v56, v56, v59
	v_fma_f16 v59, v48, s12, -v57
	v_fma_f16 v62, v49, s12, v60
	v_fma_f16 v57, v48, s12, v57
	v_fma_f16 v60, v49, s12, -v60
	v_add_f16_e32 v98, v98, v100
	v_add_f16_e32 v57, v57, v61
	;; [unrolled: 1-line block ×3, first 2 shown]
	v_mul_f16_e32 v61, 0xba62, v21
	v_mul_f16_e32 v64, 0xba62, v20
	v_add_f16_e32 v97, v97, v101
	v_add_f16_e32 v99, v99, v102
	;; [unrolled: 1-line block ×5, first 2 shown]
	v_fma_f16 v63, v48, s15, -v61
	v_fma_f16 v66, v49, s15, v64
	v_fma_f16 v61, v48, s15, v61
	v_fma_f16 v64, v49, s15, -v64
	v_add_f16_e32 v93, v93, v97
	v_add_f16_e32 v95, v95, v99
	;; [unrolled: 1-line block ×5, first 2 shown]
	v_mul_f16_e32 v65, 0x3b29, v21
	v_mul_f16_e32 v68, 0x3b29, v20
	v_add_f16_e32 v92, v92, v96
	v_add_f16_e32 v89, v89, v93
	;; [unrolled: 1-line block ×6, first 2 shown]
	v_fma_f16 v67, v48, s7, -v65
	v_fma_f16 v70, v49, s7, v68
	v_fma_f16 v65, v48, s7, v65
	v_fma_f16 v68, v49, s7, -v68
	v_add_f16_e32 v88, v88, v92
	v_add_f16_e32 v85, v85, v89
	;; [unrolled: 1-line block ×6, first 2 shown]
	v_mul_f16_e32 v69, 0xbbb2, v21
	v_mul_f16_e32 v72, 0xbbb2, v20
	v_pack_b32_f16 v23, v23, v50
	v_add_f16_e32 v84, v84, v88
	v_add_f16_e32 v81, v81, v85
	;; [unrolled: 1-line block ×6, first 2 shown]
	v_fma_f16 v71, v48, s13, -v69
	v_fma_f16 v74, v49, s13, v72
	v_fma_f16 v69, v48, s13, v69
	v_mul_f16_e32 v21, 0x3bf7, v21
	v_mul_f16_e32 v20, 0x3bf7, v20
	ds_write2_b32 v28, v19, v23 offset1:17
	v_pack_b32_f16 v19, v51, v53
	v_pack_b32_f16 v23, v55, v58
	v_add_f16_e32 v80, v80, v84
	v_add_f16_e32 v77, v77, v81
	;; [unrolled: 1-line block ×6, first 2 shown]
	v_fma_f16 v73, v48, s6, -v21
	v_fma_f16 v75, v49, s6, v20
	v_fma_f16 v21, v48, s6, v21
	v_fma_f16 v20, v49, s6, -v20
	ds_write2_b32 v28, v19, v23 offset0:34 offset1:51
	v_pack_b32_f16 v19, v59, v62
	v_pack_b32_f16 v23, v63, v66
	v_add_f16_e32 v76, v76, v80
	v_fma_f16 v72, v49, s13, -v72
	v_add_f16_e32 v73, v73, v77
	v_add_f16_e32 v75, v75, v79
	;; [unrolled: 1-line block ×4, first 2 shown]
	ds_write2_b32 v28, v19, v23 offset0:68 offset1:85
	v_pack_b32_f16 v19, v67, v70
	v_pack_b32_f16 v23, v71, v74
	v_add_f16_e32 v72, v72, v76
	ds_write2_b32 v28, v19, v23 offset0:102 offset1:119
	v_pack_b32_f16 v19, v73, v75
	v_pack_b32_f16 v20, v21, v20
	ds_write2_b32 v28, v19, v20 offset0:136 offset1:153
	v_pack_b32_f16 v19, v69, v72
	v_pack_b32_f16 v20, v65, v68
	;; [unrolled: 3-line block ×4, first 2 shown]
	ds_write2_b32 v28, v19, v20 offset0:238 offset1:255
	v_pack_b32_f16 v19, v22, v26
	ds_write_b32 v28, v19 offset:1088
	s_waitcnt lgkmcnt(0)
	s_barrier
	global_load_dword v19, v18, s[0:1] offset:1156
	s_add_u32 s0, s0, 0x484
	s_addc_u32 s1, s1, 0
	global_load_dword v24, v18, s[0:1] offset:68
	global_load_dword v25, v18, s[0:1] offset:136
	;; [unrolled: 1-line block ×12, first 2 shown]
	ds_read2_b32 v[20:21], v28 offset1:17
	s_waitcnt lgkmcnt(0)
	v_lshrrev_b32_e32 v22, 16, v20
	s_waitcnt vmcnt(12)
	v_mul_f16_sdwa v23, v22, v19 dst_sel:DWORD dst_unused:UNUSED_PAD src0_sel:DWORD src1_sel:WORD_1
	v_fma_f16 v23, v20, v19, -v23
	v_mul_f16_sdwa v20, v20, v19 dst_sel:DWORD dst_unused:UNUSED_PAD src0_sel:DWORD src1_sel:WORD_1
	v_fma_f16 v19, v22, v19, v20
	v_lshrrev_b32_e32 v20, 16, v21
	s_waitcnt vmcnt(11)
	v_mul_f16_sdwa v22, v20, v24 dst_sel:DWORD dst_unused:UNUSED_PAD src0_sel:DWORD src1_sel:WORD_1
	v_pack_b32_f16 v19, v23, v19
	v_fma_f16 v55, v21, v24, -v22
	ds_read2_b32 v[22:23], v28 offset0:34 offset1:51
	v_mul_f16_sdwa v21, v21, v24 dst_sel:DWORD dst_unused:UNUSED_PAD src0_sel:DWORD src1_sel:WORD_1
	v_fma_f16 v20, v20, v24, v21
	global_load_dword v24, v18, s[0:1] offset:884
	v_pack_b32_f16 v20, v55, v20
	ds_write2_b32 v28, v19, v20 offset1:17
	s_waitcnt lgkmcnt(1)
	v_lshrrev_b32_e32 v19, 16, v22
	s_waitcnt vmcnt(11)
	v_mul_f16_sdwa v20, v19, v25 dst_sel:DWORD dst_unused:UNUSED_PAD src0_sel:DWORD src1_sel:WORD_1
	v_mul_f16_sdwa v21, v22, v25 dst_sel:DWORD dst_unused:UNUSED_PAD src0_sel:DWORD src1_sel:WORD_1
	v_fma_f16 v20, v22, v25, -v20
	v_fma_f16 v19, v19, v25, v21
	global_load_dword v25, v18, s[0:1] offset:952
	v_lshrrev_b32_e32 v22, 16, v23
	v_pack_b32_f16 v19, v20, v19
	s_waitcnt vmcnt(11)
	v_mul_f16_sdwa v20, v22, v26 dst_sel:DWORD dst_unused:UNUSED_PAD src0_sel:DWORD src1_sel:WORD_1
	v_fma_f16 v55, v23, v26, -v20
	ds_read2_b32 v[20:21], v28 offset0:68 offset1:85
	v_mul_f16_sdwa v23, v23, v26 dst_sel:DWORD dst_unused:UNUSED_PAD src0_sel:DWORD src1_sel:WORD_1
	v_fma_f16 v22, v22, v26, v23
	global_load_dword v23, v18, s[0:1] offset:1020
	v_pack_b32_f16 v22, v55, v22
	ds_write2_b32 v28, v19, v22 offset0:34 offset1:51
	s_waitcnt lgkmcnt(1)
	v_lshrrev_b32_e32 v19, 16, v20
	s_waitcnt vmcnt(11)
	v_mul_f16_sdwa v22, v19, v27 dst_sel:DWORD dst_unused:UNUSED_PAD src0_sel:DWORD src1_sel:WORD_1
	v_fma_f16 v22, v20, v27, -v22
	v_mul_f16_sdwa v20, v20, v27 dst_sel:DWORD dst_unused:UNUSED_PAD src0_sel:DWORD src1_sel:WORD_1
	v_fma_f16 v19, v19, v27, v20
	v_pack_b32_f16 v20, v22, v19
	global_load_dword v22, v18, s[0:1] offset:1088
	v_lshrrev_b32_e32 v26, 16, v21
	s_waitcnt vmcnt(11)
	v_mul_f16_sdwa v18, v26, v48 dst_sel:DWORD dst_unused:UNUSED_PAD src0_sel:DWORD src1_sel:WORD_1
	v_fma_f16 v27, v21, v48, -v18
	ds_read2_b32 v[18:19], v28 offset0:102 offset1:119
	v_mul_f16_sdwa v21, v21, v48 dst_sel:DWORD dst_unused:UNUSED_PAD src0_sel:DWORD src1_sel:WORD_1
	v_fma_f16 v21, v26, v48, v21
	v_pack_b32_f16 v21, v27, v21
	ds_write2_b32 v28, v20, v21 offset0:68 offset1:85
	s_waitcnt lgkmcnt(1)
	v_lshrrev_b32_e32 v20, 16, v18
	s_waitcnt vmcnt(10)
	v_mul_f16_sdwa v21, v20, v49 dst_sel:DWORD dst_unused:UNUSED_PAD src0_sel:DWORD src1_sel:WORD_1
	v_fma_f16 v21, v18, v49, -v21
	v_mul_f16_sdwa v18, v18, v49 dst_sel:DWORD dst_unused:UNUSED_PAD src0_sel:DWORD src1_sel:WORD_1
	v_lshrrev_b32_e32 v26, 16, v19
	v_fma_f16 v18, v20, v49, v18
	s_waitcnt vmcnt(9)
	v_mul_f16_sdwa v20, v26, v50 dst_sel:DWORD dst_unused:UNUSED_PAD src0_sel:DWORD src1_sel:WORD_1
	v_pack_b32_f16 v18, v21, v18
	v_fma_f16 v27, v19, v50, -v20
	ds_read2_b32 v[20:21], v28 offset0:136 offset1:153
	v_mul_f16_sdwa v19, v19, v50 dst_sel:DWORD dst_unused:UNUSED_PAD src0_sel:DWORD src1_sel:WORD_1
	v_fma_f16 v19, v26, v50, v19
	v_pack_b32_f16 v19, v27, v19
	ds_write2_b32 v28, v18, v19 offset0:102 offset1:119
	s_waitcnt lgkmcnt(1)
	v_lshrrev_b32_e32 v18, 16, v20
	s_waitcnt vmcnt(8)
	v_mul_f16_sdwa v19, v18, v51 dst_sel:DWORD dst_unused:UNUSED_PAD src0_sel:DWORD src1_sel:WORD_1
	v_fma_f16 v19, v20, v51, -v19
	v_mul_f16_sdwa v20, v20, v51 dst_sel:DWORD dst_unused:UNUSED_PAD src0_sel:DWORD src1_sel:WORD_1
	v_fma_f16 v18, v18, v51, v20
	v_lshrrev_b32_e32 v26, 16, v21
	v_pack_b32_f16 v20, v19, v18
	s_waitcnt vmcnt(7)
	v_mul_f16_sdwa v18, v26, v52 dst_sel:DWORD dst_unused:UNUSED_PAD src0_sel:DWORD src1_sel:WORD_1
	v_fma_f16 v27, v21, v52, -v18
	ds_read2_b32 v[18:19], v28 offset0:170 offset1:187
	v_mul_f16_sdwa v21, v21, v52 dst_sel:DWORD dst_unused:UNUSED_PAD src0_sel:DWORD src1_sel:WORD_1
	v_fma_f16 v21, v26, v52, v21
	v_pack_b32_f16 v21, v27, v21
	ds_write2_b32 v28, v20, v21 offset0:136 offset1:153
	s_waitcnt lgkmcnt(1)
	v_lshrrev_b32_e32 v20, 16, v18
	s_waitcnt vmcnt(6)
	v_mul_f16_sdwa v21, v20, v53 dst_sel:DWORD dst_unused:UNUSED_PAD src0_sel:DWORD src1_sel:WORD_1
	v_fma_f16 v21, v18, v53, -v21
	v_mul_f16_sdwa v18, v18, v53 dst_sel:DWORD dst_unused:UNUSED_PAD src0_sel:DWORD src1_sel:WORD_1
	v_lshrrev_b32_e32 v26, 16, v19
	v_fma_f16 v18, v20, v53, v18
	s_waitcnt vmcnt(5)
	v_mul_f16_sdwa v20, v26, v54 dst_sel:DWORD dst_unused:UNUSED_PAD src0_sel:DWORD src1_sel:WORD_1
	v_pack_b32_f16 v18, v21, v18
	v_fma_f16 v27, v19, v54, -v20
	ds_read2_b32 v[20:21], v28 offset0:204 offset1:221
	v_mul_f16_sdwa v19, v19, v54 dst_sel:DWORD dst_unused:UNUSED_PAD src0_sel:DWORD src1_sel:WORD_1
	v_fma_f16 v19, v26, v54, v19
	v_pack_b32_f16 v19, v27, v19
	ds_write2_b32 v28, v18, v19 offset0:170 offset1:187
	s_waitcnt lgkmcnt(1)
	v_lshrrev_b32_e32 v18, 16, v20
	s_waitcnt vmcnt(4)
	v_mul_f16_sdwa v19, v18, v56 dst_sel:DWORD dst_unused:UNUSED_PAD src0_sel:DWORD src1_sel:WORD_1
	v_fma_f16 v19, v20, v56, -v19
	v_mul_f16_sdwa v20, v20, v56 dst_sel:DWORD dst_unused:UNUSED_PAD src0_sel:DWORD src1_sel:WORD_1
	v_fma_f16 v18, v18, v56, v20
	v_lshrrev_b32_e32 v26, 16, v21
	v_pack_b32_f16 v20, v19, v18
	s_waitcnt vmcnt(3)
	v_mul_f16_sdwa v18, v26, v24 dst_sel:DWORD dst_unused:UNUSED_PAD src0_sel:DWORD src1_sel:WORD_1
	v_fma_f16 v27, v21, v24, -v18
	ds_read2_b32 v[18:19], v28 offset0:238 offset1:255
	v_mul_f16_sdwa v21, v21, v24 dst_sel:DWORD dst_unused:UNUSED_PAD src0_sel:DWORD src1_sel:WORD_1
	v_fma_f16 v21, v26, v24, v21
	v_pack_b32_f16 v21, v27, v21
	ds_write2_b32 v28, v20, v21 offset0:204 offset1:221
	s_waitcnt lgkmcnt(1)
	v_lshrrev_b32_e32 v20, 16, v18
	s_waitcnt vmcnt(2)
	v_mul_f16_sdwa v21, v20, v25 dst_sel:DWORD dst_unused:UNUSED_PAD src0_sel:DWORD src1_sel:WORD_1
	v_fma_f16 v21, v18, v25, -v21
	v_mul_f16_sdwa v18, v18, v25 dst_sel:DWORD dst_unused:UNUSED_PAD src0_sel:DWORD src1_sel:WORD_1
	v_fma_f16 v18, v20, v25, v18
	v_lshrrev_b32_e32 v20, 16, v19
	ds_read_b32 v24, v28 offset:1088
	v_pack_b32_f16 v18, v21, v18
	s_waitcnt vmcnt(1)
	v_mul_f16_sdwa v21, v20, v23 dst_sel:DWORD dst_unused:UNUSED_PAD src0_sel:DWORD src1_sel:WORD_1
	v_fma_f16 v21, v19, v23, -v21
	v_mul_f16_sdwa v19, v19, v23 dst_sel:DWORD dst_unused:UNUSED_PAD src0_sel:DWORD src1_sel:WORD_1
	v_fma_f16 v19, v20, v23, v19
	v_pack_b32_f16 v19, v21, v19
	ds_write2_b32 v28, v18, v19 offset0:238 offset1:255
	s_waitcnt lgkmcnt(1)
	v_lshrrev_b32_e32 v18, 16, v24
	s_waitcnt vmcnt(0)
	v_mul_f16_sdwa v19, v18, v22 dst_sel:DWORD dst_unused:UNUSED_PAD src0_sel:DWORD src1_sel:WORD_1
	v_mul_f16_sdwa v20, v24, v22 dst_sel:DWORD dst_unused:UNUSED_PAD src0_sel:DWORD src1_sel:WORD_1
	v_fma_f16 v19, v24, v22, -v19
	v_fma_f16 v18, v18, v22, v20
	v_pack_b32_f16 v18, v19, v18
	ds_write_b32 v28, v18 offset:1088
	s_waitcnt lgkmcnt(0)
	s_barrier
	ds_read2_b32 v[50:51], v28 offset1:17
	ds_read_b32 v49, v28 offset:1088
	ds_read2_b32 v[52:53], v28 offset0:34 offset1:51
	ds_read2_b32 v[24:25], v28 offset0:68 offset1:85
	;; [unrolled: 1-line block ×7, first 2 shown]
	s_waitcnt lgkmcnt(8)
	v_pk_add_f16 v48, v51, v50
	s_waitcnt lgkmcnt(6)
	v_pk_add_f16 v48, v48, v52
	v_pk_add_f16 v48, v48, v53
	s_waitcnt lgkmcnt(5)
	v_pk_add_f16 v48, v48, v24
	;; [unrolled: 3-line block ×7, first 2 shown]
	v_pk_add_f16 v48, v48, v55
	v_pk_add_f16 v56, v49, v51
	;; [unrolled: 1-line block ×3, first 2 shown]
	v_pk_add_f16 v49, v51, v49 neg_lo:[0,1] neg_hi:[0,1]
	v_mul_f16_sdwa v58, v56, s14 dst_sel:DWORD dst_unused:UNUSED_PAD src0_sel:WORD_1 src1_sel:DWORD
	v_mul_f16_sdwa v62, v56, s12 dst_sel:DWORD dst_unused:UNUSED_PAD src0_sel:WORD_1 src1_sel:DWORD
	;; [unrolled: 1-line block ×8, first 2 shown]
	v_fma_f16 v59, v49, s30, v58
	v_fma_f16 v58, v49, s24, v58
	v_mul_f16_sdwa v60, v49, s20 dst_sel:DWORD dst_unused:UNUSED_PAD src0_sel:WORD_1 src1_sel:DWORD
	v_fma_f16 v63, v49, s26, v62
	v_fma_f16 v62, v49, s20, v62
	v_mul_f16_sdwa v64, v49, s18 dst_sel:DWORD dst_unused:UNUSED_PAD src0_sel:WORD_1 src1_sel:DWORD
	;; [unrolled: 3-line block ×6, first 2 shown]
	v_fma_f16 v83, v49, s28, v82
	v_fma_f16 v82, v49, s25, v82
	v_pk_mul_f16 v49, v49, s29 op_sel_hi:[1,0]
	v_fma_f16 v57, v56, s14, v51
	v_fma_f16 v51, v56, s14, -v51
	v_fma_f16 v61, v56, s12, v60
	v_fma_f16 v60, v56, s12, -v60
	;; [unrolled: 2-line block ×7, first 2 shown]
	v_pk_fma_f16 v84, v56, s17, v49 op_sel:[0,0,1] op_sel_hi:[1,0,0]
	v_pk_fma_f16 v49, v56, s17, v49 op_sel:[0,0,1] op_sel_hi:[1,0,0] neg_lo:[0,0,1] neg_hi:[0,0,1]
	v_add_f16_e32 v57, v57, v50
	v_add_f16_sdwa v59, v59, v50 dst_sel:DWORD dst_unused:UNUSED_PAD src0_sel:DWORD src1_sel:WORD_1
	v_add_f16_e32 v51, v51, v50
	v_add_f16_sdwa v58, v58, v50 dst_sel:DWORD dst_unused:UNUSED_PAD src0_sel:DWORD src1_sel:WORD_1
	;; [unrolled: 2-line block ×14, first 2 shown]
	v_pk_add_f16 v84, v84, v50
	v_pk_add_f16 v49, v49, v50
	;; [unrolled: 1-line block ×3, first 2 shown]
	v_pk_add_f16 v52, v52, v55 neg_lo:[0,1] neg_hi:[0,1]
	v_mul_f16_sdwa v55, v52, s20 dst_sel:DWORD dst_unused:UNUSED_PAD src0_sel:WORD_1 src1_sel:DWORD
	v_fma_f16 v56, v50, s12, v55
	v_add_f16_e32 v56, v56, v57
	v_mul_f16_sdwa v57, v50, s12 dst_sel:DWORD dst_unused:UNUSED_PAD src0_sel:WORD_1 src1_sel:DWORD
	v_fma_f16 v55, v50, s12, -v55
	v_fma_f16 v85, v52, s26, v57
	v_add_f16_e32 v51, v55, v51
	v_fma_f16 v55, v52, s20, v57
	v_mul_f16_sdwa v57, v52, s2 dst_sel:DWORD dst_unused:UNUSED_PAD src0_sel:WORD_1 src1_sel:DWORD
	v_add_f16_e32 v55, v55, v58
	v_fma_f16 v58, v50, s6, v57
	v_add_f16_e32 v58, v58, v61
	v_mul_f16_sdwa v61, v50, s6 dst_sel:DWORD dst_unused:UNUSED_PAD src0_sel:WORD_1 src1_sel:DWORD
	v_fma_f16 v57, v50, s6, -v57
	v_add_f16_e32 v59, v85, v59
	v_fma_f16 v85, v52, s21, v61
	v_add_f16_e32 v57, v57, v60
	v_fma_f16 v60, v52, s2, v61
	v_mul_f16_sdwa v61, v52, s22 dst_sel:DWORD dst_unused:UNUSED_PAD src0_sel:WORD_1 src1_sel:DWORD
	v_add_f16_e32 v60, v60, v62
	v_fma_f16 v62, v50, s15, v61
	v_add_f16_e32 v62, v62, v65
	v_mul_f16_sdwa v65, v50, s15 dst_sel:DWORD dst_unused:UNUSED_PAD src0_sel:WORD_1 src1_sel:DWORD
	v_fma_f16 v61, v50, s15, -v61
	v_add_f16_e32 v63, v85, v63
	;; [unrolled: 10-line block ×6, first 2 shown]
	v_fma_f16 v85, v52, s18, v81
	v_add_f16_e32 v77, v77, v80
	v_fma_f16 v80, v52, s23, v81
	v_pk_mul_f16 v52, v52, s30 op_sel_hi:[1,0]
	v_pk_fma_f16 v81, v50, s14, v52 op_sel:[0,0,1] op_sel_hi:[1,0,0]
	v_pk_fma_f16 v50, v50, s14, v52 op_sel:[0,0,1] op_sel_hi:[1,0,0] neg_lo:[0,0,1] neg_hi:[0,0,1]
	v_pk_add_f16 v52, v53, v54 neg_lo:[0,1] neg_hi:[0,1]
	v_pk_add_f16 v49, v50, v49
	v_pk_add_f16 v50, v54, v53
	v_mul_f16_sdwa v53, v52, s18 dst_sel:DWORD dst_unused:UNUSED_PAD src0_sel:WORD_1 src1_sel:DWORD
	v_fma_f16 v54, v50, s7, v53
	v_add_f16_e32 v54, v54, v56
	v_mul_f16_sdwa v56, v50, s7 dst_sel:DWORD dst_unused:UNUSED_PAD src0_sel:WORD_1 src1_sel:DWORD
	v_fma_f16 v53, v50, s7, -v53
	v_add_f16_e32 v51, v53, v51
	v_fma_f16 v53, v52, s18, v56
	v_add_f16_e32 v53, v53, v55
	v_mul_f16_sdwa v55, v52, s22 dst_sel:DWORD dst_unused:UNUSED_PAD src0_sel:WORD_1 src1_sel:DWORD
	v_add_f16_e32 v80, v80, v82
	v_fma_f16 v82, v52, s23, v56
	v_fma_f16 v56, v50, s15, v55
	v_add_f16_e32 v56, v56, v58
	v_mul_f16_sdwa v58, v50, s15 dst_sel:DWORD dst_unused:UNUSED_PAD src0_sel:WORD_1 src1_sel:DWORD
	v_fma_f16 v55, v50, s15, -v55
	v_add_f16_e32 v59, v82, v59
	v_fma_f16 v82, v52, s27, v58
	v_add_f16_e32 v55, v55, v57
	v_fma_f16 v57, v52, s22, v58
	v_mul_f16_sdwa v58, v52, s31 dst_sel:DWORD dst_unused:UNUSED_PAD src0_sel:WORD_1 src1_sel:DWORD
	v_add_f16_e32 v57, v57, v60
	v_fma_f16 v60, v50, s17, v58
	v_add_f16_e32 v60, v60, v62
	v_mul_f16_sdwa v62, v50, s17 dst_sel:DWORD dst_unused:UNUSED_PAD src0_sel:WORD_1 src1_sel:DWORD
	v_fma_f16 v58, v50, s17, -v58
	v_add_f16_e32 v63, v82, v63
	v_fma_f16 v82, v52, s29, v62
	v_add_f16_e32 v58, v58, v61
	v_fma_f16 v61, v52, s31, v62
	v_mul_f16_sdwa v62, v52, s19 dst_sel:DWORD dst_unused:UNUSED_PAD src0_sel:WORD_1 src1_sel:DWORD
	v_add_f16_e32 v61, v61, v64
	;; [unrolled: 10-line block ×5, first 2 shown]
	v_fma_f16 v76, v50, s6, v74
	v_add_f16_e32 v76, v76, v78
	v_mul_f16_sdwa v78, v50, s6 dst_sel:DWORD dst_unused:UNUSED_PAD src0_sel:WORD_1 src1_sel:DWORD
	v_fma_f16 v74, v50, s6, -v74
	v_add_f16_e32 v79, v82, v79
	v_fma_f16 v82, v52, s21, v78
	v_add_f16_e32 v74, v74, v77
	v_fma_f16 v77, v52, s2, v78
	v_pk_mul_f16 v52, v52, s25 op_sel_hi:[1,0]
	v_pk_fma_f16 v78, v50, s16, v52 op_sel:[0,0,1] op_sel_hi:[1,0,0]
	v_pk_fma_f16 v50, v50, s16, v52 op_sel:[0,0,1] op_sel_hi:[1,0,0] neg_lo:[0,0,1] neg_hi:[0,0,1]
	v_pk_add_f16 v49, v50, v49
	v_pk_add_f16 v50, v27, v24
	v_pk_add_f16 v24, v24, v27 neg_lo:[0,1] neg_hi:[0,1]
	v_mul_f16_sdwa v27, v24, s2 dst_sel:DWORD dst_unused:UNUSED_PAD src0_sel:WORD_1 src1_sel:DWORD
	v_fma_f16 v52, v50, s6, v27
	v_add_f16_e32 v52, v52, v54
	v_mul_f16_sdwa v54, v50, s6 dst_sel:DWORD dst_unused:UNUSED_PAD src0_sel:WORD_1 src1_sel:DWORD
	v_fma_f16 v27, v50, s6, -v27
	v_add_f16_e32 v27, v27, v51
	v_fma_f16 v51, v24, s2, v54
	v_add_f16_e32 v51, v51, v53
	v_mul_f16_sdwa v53, v24, s29 dst_sel:DWORD dst_unused:UNUSED_PAD src0_sel:WORD_1 src1_sel:DWORD
	v_add_f16_e32 v77, v77, v80
	v_fma_f16 v80, v24, s21, v54
	v_fma_f16 v54, v50, s17, v53
	v_add_f16_e32 v54, v54, v56
	v_mul_f16_sdwa v56, v50, s17 dst_sel:DWORD dst_unused:UNUSED_PAD src0_sel:WORD_1 src1_sel:DWORD
	v_fma_f16 v53, v50, s17, -v53
	v_add_f16_e32 v59, v80, v59
	v_fma_f16 v80, v24, s31, v56
	v_add_f16_e32 v53, v53, v55
	v_fma_f16 v55, v24, s29, v56
	v_mul_f16_sdwa v56, v24, s19 dst_sel:DWORD dst_unused:UNUSED_PAD src0_sel:WORD_1 src1_sel:DWORD
	v_add_f16_e32 v55, v55, v57
	v_fma_f16 v57, v50, s13, v56
	v_add_f16_e32 v57, v57, v60
	v_mul_f16_sdwa v60, v50, s13 dst_sel:DWORD dst_unused:UNUSED_PAD src0_sel:WORD_1 src1_sel:DWORD
	v_fma_f16 v56, v50, s13, -v56
	v_add_f16_e32 v63, v80, v63
	v_fma_f16 v80, v24, s3, v60
	v_add_f16_e32 v56, v56, v58
	v_fma_f16 v58, v24, s19, v60
	v_mul_f16_sdwa v60, v24, s30 dst_sel:DWORD dst_unused:UNUSED_PAD src0_sel:WORD_1 src1_sel:DWORD
	v_add_f16_e32 v58, v58, v61
	;; [unrolled: 10-line block ×5, first 2 shown]
	v_fma_f16 v73, v50, s15, v72
	v_add_f16_e32 v73, v73, v76
	v_mul_f16_sdwa v76, v50, s15 dst_sel:DWORD dst_unused:UNUSED_PAD src0_sel:WORD_1 src1_sel:DWORD
	v_fma_f16 v72, v50, s15, -v72
	v_add_f16_e32 v79, v80, v79
	v_fma_f16 v80, v24, s22, v76
	v_add_f16_e32 v72, v72, v74
	v_fma_f16 v74, v24, s27, v76
	v_pk_mul_f16 v24, v24, s26 op_sel_hi:[1,0]
	v_pk_fma_f16 v76, v50, s12, v24 op_sel:[0,0,1] op_sel_hi:[1,0,0]
	v_pk_fma_f16 v24, v50, s12, v24 op_sel:[0,0,1] op_sel_hi:[1,0,0] neg_lo:[0,0,1] neg_hi:[0,0,1]
	v_pk_add_f16 v24, v24, v49
	v_pk_add_f16 v49, v26, v25
	v_pk_add_f16 v25, v25, v26 neg_lo:[0,1] neg_hi:[0,1]
	v_mul_f16_sdwa v26, v25, s3 dst_sel:DWORD dst_unused:UNUSED_PAD src0_sel:WORD_1 src1_sel:DWORD
	v_fma_f16 v50, v49, s13, v26
	v_add_f16_e32 v50, v50, v52
	v_mul_f16_sdwa v52, v49, s13 dst_sel:DWORD dst_unused:UNUSED_PAD src0_sel:WORD_1 src1_sel:DWORD
	v_fma_f16 v26, v49, s13, -v26
	v_add_f16_e32 v26, v26, v27
	v_fma_f16 v27, v25, s3, v52
	v_add_f16_e32 v27, v27, v51
	v_mul_f16_sdwa v51, v25, s28 dst_sel:DWORD dst_unused:UNUSED_PAD src0_sel:WORD_1 src1_sel:DWORD
	v_add_f16_e32 v74, v74, v77
	v_fma_f16 v77, v25, s19, v52
	v_fma_f16 v52, v49, s16, v51
	v_add_f16_e32 v52, v52, v54
	v_mul_f16_sdwa v54, v49, s16 dst_sel:DWORD dst_unused:UNUSED_PAD src0_sel:WORD_1 src1_sel:DWORD
	v_fma_f16 v51, v49, s16, -v51
	v_add_f16_e32 v59, v77, v59
	v_fma_f16 v77, v25, s25, v54
	v_add_f16_e32 v51, v51, v53
	v_fma_f16 v53, v25, s28, v54
	v_mul_f16_sdwa v54, v25, s26 dst_sel:DWORD dst_unused:UNUSED_PAD src0_sel:WORD_1 src1_sel:DWORD
	v_add_f16_e32 v53, v53, v55
	v_fma_f16 v55, v49, s12, v54
	v_add_f16_e32 v55, v55, v57
	v_mul_f16_sdwa v57, v49, s12 dst_sel:DWORD dst_unused:UNUSED_PAD src0_sel:WORD_1 src1_sel:DWORD
	v_fma_f16 v54, v49, s12, -v54
	v_add_f16_e32 v63, v77, v63
	v_fma_f16 v77, v25, s20, v57
	v_add_f16_e32 v54, v54, v56
	v_fma_f16 v56, v25, s26, v57
	v_mul_f16_sdwa v57, v25, s18 dst_sel:DWORD dst_unused:UNUSED_PAD src0_sel:WORD_1 src1_sel:DWORD
	v_add_f16_e32 v56, v56, v58
	;; [unrolled: 10-line block ×4, first 2 shown]
	v_fma_f16 v66, v49, s6, v65
	v_add_f16_e32 v66, v66, v69
	v_mul_f16_sdwa v69, v49, s6 dst_sel:DWORD dst_unused:UNUSED_PAD src0_sel:WORD_1 src1_sel:DWORD
	v_fma_f16 v65, v49, s6, -v65
	v_add_f16_e32 v75, v77, v75
	v_fma_f16 v77, v25, s2, v69
	v_add_f16_e32 v65, v65, v68
	v_fma_f16 v68, v25, s21, v69
	v_mul_f16_sdwa v69, v25, s24 dst_sel:DWORD dst_unused:UNUSED_PAD src0_sel:WORD_1 src1_sel:DWORD
	v_pk_add_f16 v81, v81, v84
	v_add_f16_e32 v68, v68, v70
	v_fma_f16 v70, v49, s14, v69
	v_pk_add_f16 v78, v78, v81
	v_add_f16_e32 v70, v70, v73
	v_mul_f16_sdwa v73, v49, s14 dst_sel:DWORD dst_unused:UNUSED_PAD src0_sel:WORD_1 src1_sel:DWORD
	v_fma_f16 v69, v49, s14, -v69
	v_pk_add_f16 v76, v76, v78
	v_fma_f16 v78, v25, s30, v73
	v_add_f16_e32 v69, v69, v72
	v_fma_f16 v72, v25, s24, v73
	v_pk_mul_f16 v25, v25, s22 op_sel_hi:[1,0]
	v_pk_fma_f16 v73, v49, s15, v25 op_sel:[0,0,1] op_sel_hi:[1,0,0]
	v_pk_fma_f16 v25, v49, s15, v25 op_sel:[0,0,1] op_sel_hi:[1,0,0] neg_lo:[0,0,1] neg_hi:[0,0,1]
	v_pk_add_f16 v24, v25, v24
	v_pk_add_f16 v25, v23, v20
	v_pk_add_f16 v20, v20, v23 neg_lo:[0,1] neg_hi:[0,1]
	v_mul_f16_sdwa v23, v20, s22 dst_sel:DWORD dst_unused:UNUSED_PAD src0_sel:WORD_1 src1_sel:DWORD
	v_fma_f16 v49, v25, s15, v23
	v_add_f16_e32 v49, v49, v50
	v_mul_f16_sdwa v50, v25, s15 dst_sel:DWORD dst_unused:UNUSED_PAD src0_sel:WORD_1 src1_sel:DWORD
	v_fma_f16 v23, v25, s15, -v23
	v_add_f16_e32 v23, v23, v26
	v_fma_f16 v26, v20, s22, v50
	v_add_f16_e32 v26, v26, v27
	v_mul_f16_sdwa v27, v20, s19 dst_sel:DWORD dst_unused:UNUSED_PAD src0_sel:WORD_1 src1_sel:DWORD
	v_add_f16_e32 v72, v72, v74
	v_fma_f16 v74, v20, s27, v50
	v_fma_f16 v50, v25, s13, v27
	v_add_f16_e32 v50, v50, v52
	v_mul_f16_sdwa v52, v25, s13 dst_sel:DWORD dst_unused:UNUSED_PAD src0_sel:WORD_1 src1_sel:DWORD
	v_fma_f16 v27, v25, s13, -v27
	v_add_f16_e32 v59, v74, v59
	v_fma_f16 v74, v20, s3, v52
	v_add_f16_e32 v27, v27, v51
	v_fma_f16 v51, v20, s19, v52
	v_mul_f16_sdwa v52, v20, s24 dst_sel:DWORD dst_unused:UNUSED_PAD src0_sel:WORD_1 src1_sel:DWORD
	v_add_f16_e32 v51, v51, v53
	v_fma_f16 v53, v25, s14, v52
	v_add_f16_e32 v53, v53, v55
	v_mul_f16_sdwa v55, v25, s14 dst_sel:DWORD dst_unused:UNUSED_PAD src0_sel:WORD_1 src1_sel:DWORD
	v_fma_f16 v52, v25, s14, -v52
	v_add_f16_e32 v63, v74, v63
	v_fma_f16 v74, v20, s30, v55
	v_add_f16_e32 v52, v52, v54
	v_fma_f16 v54, v20, s24, v55
	v_mul_f16_sdwa v55, v20, s25 dst_sel:DWORD dst_unused:UNUSED_PAD src0_sel:WORD_1 src1_sel:DWORD
	v_add_f16_e32 v54, v54, v56
	v_fma_f16 v56, v25, s16, v55
	v_add_f16_e32 v56, v56, v58
	v_mul_f16_sdwa v58, v25, s16 dst_sel:DWORD dst_unused:UNUSED_PAD src0_sel:WORD_1 src1_sel:DWORD
	v_fma_f16 v55, v25, s16, -v55
	v_add_f16_e32 v67, v74, v67
	v_fma_f16 v74, v20, s28, v58
	v_add_f16_e32 v55, v55, v57
	v_fma_f16 v57, v20, s25, v58
	v_mul_f16_sdwa v58, v20, s21 dst_sel:DWORD dst_unused:UNUSED_PAD src0_sel:WORD_1 src1_sel:DWORD
	v_add_f16_e32 v57, v57, v60
	v_fma_f16 v60, v25, s6, v58
	v_add_f16_e32 v60, v60, v62
	v_mul_f16_sdwa v62, v25, s6 dst_sel:DWORD dst_unused:UNUSED_PAD src0_sel:WORD_1 src1_sel:DWORD
	v_fma_f16 v58, v25, s6, -v58
	v_add_f16_e32 v71, v74, v71
	v_fma_f16 v74, v20, s2, v62
	v_add_f16_e32 v58, v58, v61
	v_fma_f16 v61, v20, s21, v62
	v_mul_f16_sdwa v62, v20, s20 dst_sel:DWORD dst_unused:UNUSED_PAD src0_sel:WORD_1 src1_sel:DWORD
	v_add_f16_e32 v61, v61, v64
	v_fma_f16 v64, v25, s12, v62
	v_add_f16_e32 v64, v64, v66
	v_mul_f16_sdwa v66, v25, s12 dst_sel:DWORD dst_unused:UNUSED_PAD src0_sel:WORD_1 src1_sel:DWORD
	v_fma_f16 v62, v25, s12, -v62
	v_add_f16_e32 v74, v74, v75
	v_fma_f16 v75, v20, s26, v66
	v_add_f16_e32 v62, v62, v65
	v_fma_f16 v65, v20, s20, v66
	v_mul_f16_sdwa v66, v20, s29 dst_sel:DWORD dst_unused:UNUSED_PAD src0_sel:WORD_1 src1_sel:DWORD
	v_add_f16_e32 v65, v65, v68
	v_fma_f16 v68, v25, s17, v66
	v_add_f16_e32 v68, v68, v70
	v_mul_f16_sdwa v70, v25, s17 dst_sel:DWORD dst_unused:UNUSED_PAD src0_sel:WORD_1 src1_sel:DWORD
	v_fma_f16 v66, v25, s17, -v66
	v_pk_add_f16 v73, v73, v76
	v_fma_f16 v76, v20, s31, v70
	v_add_f16_e32 v66, v66, v69
	v_fma_f16 v69, v20, s29, v70
	v_pk_mul_f16 v20, v20, s23 op_sel_hi:[1,0]
	v_pk_fma_f16 v70, v25, s7, v20 op_sel:[0,0,1] op_sel_hi:[1,0,0]
	v_pk_fma_f16 v20, v25, s7, v20 op_sel:[0,0,1] op_sel_hi:[1,0,0] neg_lo:[0,0,1] neg_hi:[0,0,1]
	v_pk_add_f16 v20, v20, v24
	v_pk_add_f16 v24, v22, v21
	v_pk_add_f16 v21, v21, v22 neg_lo:[0,1] neg_hi:[0,1]
	v_mul_f16_sdwa v22, v21, s25 dst_sel:DWORD dst_unused:UNUSED_PAD src0_sel:WORD_1 src1_sel:DWORD
	v_fma_f16 v25, v24, s16, v22
	v_add_f16_e32 v25, v25, v49
	v_mul_f16_sdwa v49, v24, s16 dst_sel:DWORD dst_unused:UNUSED_PAD src0_sel:WORD_1 src1_sel:DWORD
	v_fma_f16 v22, v24, s16, -v22
	v_add_f16_e32 v22, v22, v23
	v_fma_f16 v23, v21, s25, v49
	v_add_f16_e32 v23, v23, v26
	v_mul_f16_sdwa v26, v21, s23 dst_sel:DWORD dst_unused:UNUSED_PAD src0_sel:WORD_1 src1_sel:DWORD
	v_add_f16_e32 v69, v69, v72
	v_fma_f16 v72, v21, s28, v49
	v_fma_f16 v49, v24, s7, v26
	v_add_f16_e32 v49, v49, v50
	v_mul_f16_sdwa v50, v24, s7 dst_sel:DWORD dst_unused:UNUSED_PAD src0_sel:WORD_1 src1_sel:DWORD
	v_fma_f16 v26, v24, s7, -v26
	v_add_f16_e32 v59, v72, v59
	v_fma_f16 v72, v21, s18, v50
	v_add_f16_e32 v26, v26, v27
	v_fma_f16 v27, v21, s23, v50
	v_mul_f16_sdwa v50, v21, s2 dst_sel:DWORD dst_unused:UNUSED_PAD src0_sel:WORD_1 src1_sel:DWORD
	v_add_f16_e32 v27, v27, v51
	v_fma_f16 v51, v24, s6, v50
	v_add_f16_e32 v51, v51, v53
	v_mul_f16_sdwa v53, v24, s6 dst_sel:DWORD dst_unused:UNUSED_PAD src0_sel:WORD_1 src1_sel:DWORD
	v_fma_f16 v50, v24, s6, -v50
	v_add_f16_e32 v63, v72, v63
	v_fma_f16 v72, v21, s21, v53
	v_add_f16_e32 v50, v50, v52
	v_fma_f16 v52, v21, s2, v53
	v_mul_f16_sdwa v53, v21, s27 dst_sel:DWORD dst_unused:UNUSED_PAD src0_sel:WORD_1 src1_sel:DWORD
	v_add_f16_e32 v52, v52, v54
	;; [unrolled: 10-line block ×4, first 2 shown]
	v_fma_f16 v61, v24, s17, v60
	v_add_f16_e32 v61, v61, v64
	v_mul_f16_sdwa v64, v24, s17 dst_sel:DWORD dst_unused:UNUSED_PAD src0_sel:WORD_1 src1_sel:DWORD
	v_fma_f16 v60, v24, s17, -v60
	v_pk_add_f16 v70, v70, v73
	v_fma_f16 v73, v21, s31, v64
	v_add_f16_e32 v60, v60, v62
	v_fma_f16 v62, v21, s29, v64
	v_mul_f16_sdwa v64, v21, s26 dst_sel:DWORD dst_unused:UNUSED_PAD src0_sel:WORD_1 src1_sel:DWORD
	v_add_f16_e32 v62, v62, v65
	v_fma_f16 v65, v24, s12, v64
	v_add_f16_e32 v65, v65, v68
	v_mul_f16_sdwa v68, v24, s12 dst_sel:DWORD dst_unused:UNUSED_PAD src0_sel:WORD_1 src1_sel:DWORD
	v_fma_f16 v64, v24, s12, -v64
	v_add_f16_e32 v72, v72, v74
	v_fma_f16 v74, v21, s20, v68
	v_add_f16_e32 v64, v64, v66
	v_fma_f16 v66, v21, s26, v68
	v_pk_mul_f16 v21, v21, s3 op_sel_hi:[1,0]
	v_pk_fma_f16 v68, v24, s13, v21 op_sel:[0,0,1] op_sel_hi:[1,0,0]
	v_pk_fma_f16 v21, v24, s13, v21 op_sel:[0,0,1] op_sel_hi:[1,0,0] neg_lo:[0,0,1] neg_hi:[0,0,1]
	v_pk_add_f16 v20, v21, v20
	v_pk_add_f16 v21, v19, v18
	v_pk_add_f16 v18, v18, v19 neg_lo:[0,1] neg_hi:[0,1]
	v_mul_f16_sdwa v19, v18, s29 dst_sel:DWORD dst_unused:UNUSED_PAD src0_sel:WORD_1 src1_sel:DWORD
	v_fma_f16 v24, v21, s17, v19
	v_add_f16_e32 v24, v24, v25
	v_mul_f16_sdwa v25, v21, s17 dst_sel:DWORD dst_unused:UNUSED_PAD src0_sel:WORD_1 src1_sel:DWORD
	v_fma_f16 v19, v21, s17, -v19
	v_add_f16_e32 v19, v19, v22
	v_fma_f16 v22, v18, s29, v25
	v_add_f16_e32 v22, v22, v23
	v_mul_f16_sdwa v23, v18, s30 dst_sel:DWORD dst_unused:UNUSED_PAD src0_sel:WORD_1 src1_sel:DWORD
	v_add_f16_e32 v66, v66, v69
	v_fma_f16 v69, v18, s31, v25
	v_fma_f16 v25, v21, s14, v23
	v_add_f16_e32 v25, v25, v49
	v_mul_f16_sdwa v49, v21, s14 dst_sel:DWORD dst_unused:UNUSED_PAD src0_sel:WORD_1 src1_sel:DWORD
	v_fma_f16 v23, v21, s14, -v23
	v_add_f16_e32 v23, v23, v26
	v_fma_f16 v26, v18, s30, v49
	v_add_f16_e32 v26, v26, v27
	v_mul_f16_sdwa v27, v18, s25 dst_sel:DWORD dst_unused:UNUSED_PAD src0_sel:WORD_1 src1_sel:DWORD
	v_add_f16_e32 v59, v69, v59
	v_fma_f16 v69, v18, s24, v49
	v_fma_f16 v49, v21, s16, v27
	v_add_f16_e32 v49, v49, v51
	v_mul_f16_sdwa v51, v21, s16 dst_sel:DWORD dst_unused:UNUSED_PAD src0_sel:WORD_1 src1_sel:DWORD
	v_fma_f16 v27, v21, s16, -v27
	v_add_f16_e32 v63, v69, v63
	v_fma_f16 v69, v18, s28, v51
	v_add_f16_e32 v27, v27, v50
	v_fma_f16 v50, v18, s25, v51
	v_mul_f16_sdwa v51, v18, s26 dst_sel:DWORD dst_unused:UNUSED_PAD src0_sel:WORD_1 src1_sel:DWORD
	v_add_f16_e32 v50, v50, v52
	v_fma_f16 v52, v21, s12, v51
	v_add_f16_e32 v52, v52, v54
	v_mul_f16_sdwa v54, v21, s12 dst_sel:DWORD dst_unused:UNUSED_PAD src0_sel:WORD_1 src1_sel:DWORD
	v_fma_f16 v51, v21, s12, -v51
	v_add_f16_e32 v67, v69, v67
	v_fma_f16 v69, v18, s20, v54
	v_add_f16_e32 v51, v51, v53
	v_fma_f16 v53, v18, s26, v54
	v_mul_f16_sdwa v54, v18, s22 dst_sel:DWORD dst_unused:UNUSED_PAD src0_sel:WORD_1 src1_sel:DWORD
	v_add_f16_e32 v53, v53, v55
	v_fma_f16 v55, v21, s15, v54
	v_add_f16_e32 v55, v55, v57
	v_mul_f16_sdwa v57, v21, s15 dst_sel:DWORD dst_unused:UNUSED_PAD src0_sel:WORD_1 src1_sel:DWORD
	v_fma_f16 v54, v21, s15, -v54
	v_pk_add_f16 v68, v68, v70
	v_fma_f16 v70, v18, s27, v57
	v_add_f16_e32 v54, v54, v56
	v_fma_f16 v56, v18, s22, v57
	v_mul_f16_sdwa v57, v18, s23 dst_sel:DWORD dst_unused:UNUSED_PAD src0_sel:WORD_1 src1_sel:DWORD
	v_add_f16_e32 v56, v56, v58
	v_fma_f16 v58, v21, s7, v57
	v_add_f16_e32 v58, v58, v61
	v_mul_f16_sdwa v61, v21, s7 dst_sel:DWORD dst_unused:UNUSED_PAD src0_sel:WORD_1 src1_sel:DWORD
	v_fma_f16 v57, v21, s7, -v57
	v_add_f16_e32 v69, v69, v71
	v_fma_f16 v71, v18, s18, v61
	v_add_f16_e32 v57, v57, v60
	v_fma_f16 v60, v18, s23, v61
	v_mul_f16_sdwa v61, v18, s3 dst_sel:DWORD dst_unused:UNUSED_PAD src0_sel:WORD_1 src1_sel:DWORD
	v_add_f16_e32 v83, v85, v83
	v_add_f16_e32 v60, v60, v62
	v_fma_f16 v62, v21, s13, v61
	v_add_f16_e32 v82, v82, v83
	v_add_f16_e32 v62, v62, v65
	v_mul_f16_sdwa v65, v21, s13 dst_sel:DWORD dst_unused:UNUSED_PAD src0_sel:WORD_1 src1_sel:DWORD
	v_fma_f16 v61, v21, s13, -v61
	v_add_f16_e32 v80, v80, v82
	v_add_f16_e32 v77, v77, v79
	;; [unrolled: 1-line block ×3, first 2 shown]
	v_fma_f16 v72, v18, s19, v65
	v_add_f16_e32 v61, v61, v64
	v_fma_f16 v64, v18, s3, v65
	v_pk_mul_f16 v18, v18, s21 op_sel_hi:[1,0]
	v_add_f16_e32 v78, v78, v80
	v_add_f16_e32 v75, v75, v77
	v_pk_fma_f16 v65, v21, s6, v18 op_sel:[0,0,1] op_sel_hi:[1,0,0]
	v_pk_fma_f16 v18, v21, s6, v18 op_sel:[0,0,1] op_sel_hi:[1,0,0] neg_lo:[0,0,1] neg_hi:[0,0,1]
	v_add_f16_e32 v76, v76, v78
	v_add_f16_e32 v73, v73, v75
	v_pk_add_f16 v18, v18, v20
	v_pack_b32_f16 v20, v25, v63
	v_pack_b32_f16 v21, v24, v59
	v_add_f16_e32 v74, v74, v76
	v_add_f16_e32 v71, v71, v73
	s_barrier
	ds_write2_b32 v47, v21, v20 offset0:1 offset1:2
	v_pack_b32_f16 v20, v52, v69
	v_pack_b32_f16 v21, v49, v67
	v_add_f16_e32 v72, v72, v74
	ds_write2_b32 v47, v21, v20 offset0:3 offset1:4
	v_pack_b32_f16 v20, v58, v71
	v_pack_b32_f16 v21, v55, v70
	v_pk_add_f16 v65, v65, v68
	ds_write2_b32 v47, v21, v20 offset0:5 offset1:6
	v_pack_b32_f16 v20, v62, v72
	s_mov_b32 s0, 0xffff
	v_add_f16_e32 v64, v64, v66
	ds_write2_b32 v47, v48, v20 offset1:7
	v_bfi_b32 v20, s0, v18, v65
	v_bfi_b32 v18, s0, v65, v18
	ds_write2_b32 v47, v18, v20 offset0:8 offset1:9
	v_pack_b32_f16 v18, v57, v60
	v_pack_b32_f16 v20, v61, v64
	ds_write2_b32 v47, v20, v18 offset0:10 offset1:11
	v_pack_b32_f16 v18, v51, v53
	v_pack_b32_f16 v20, v54, v56
	;; [unrolled: 3-line block ×3, first 2 shown]
	ds_write2_b32 v47, v20, v18 offset0:14 offset1:15
	v_pack_b32_f16 v18, v19, v22
	ds_write_b32 v47, v18 offset:64
	s_waitcnt lgkmcnt(0)
	s_barrier
	ds_read2_b32 v[18:19], v28 offset1:17
	ds_read2_b32 v[20:21], v28 offset0:34 offset1:51
	ds_read2_b32 v[22:23], v28 offset0:68 offset1:85
	;; [unrolled: 1-line block ×4, first 2 shown]
	s_waitcnt lgkmcnt(4)
	v_lshrrev_b32_e32 v47, 16, v19
	v_mul_f16_sdwa v70, v0, v47 dst_sel:DWORD dst_unused:UNUSED_PAD src0_sel:WORD_1 src1_sel:DWORD
	s_waitcnt lgkmcnt(3)
	v_lshrrev_b32_e32 v54, 16, v20
	v_fma_f16 v70, v0, v19, v70
	v_mul_f16_sdwa v19, v0, v19 dst_sel:DWORD dst_unused:UNUSED_PAD src0_sel:WORD_1 src1_sel:DWORD
	v_fma_f16 v19, v0, v47, -v19
	v_mul_f16_sdwa v0, v1, v54 dst_sel:DWORD dst_unused:UNUSED_PAD src0_sel:WORD_1 src1_sel:DWORD
	v_lshrrev_b32_e32 v55, 16, v21
	v_fma_f16 v47, v1, v20, v0
	v_mul_f16_sdwa v0, v1, v20 dst_sel:DWORD dst_unused:UNUSED_PAD src0_sel:WORD_1 src1_sel:DWORD
	v_fma_f16 v20, v1, v54, -v0
	v_mul_f16_sdwa v0, v2, v55 dst_sel:DWORD dst_unused:UNUSED_PAD src0_sel:WORD_1 src1_sel:DWORD
	s_waitcnt lgkmcnt(2)
	v_lshrrev_b32_e32 v56, 16, v22
	v_fma_f16 v54, v2, v21, v0
	v_mul_f16_sdwa v0, v2, v21 dst_sel:DWORD dst_unused:UNUSED_PAD src0_sel:WORD_1 src1_sel:DWORD
	v_fma_f16 v21, v2, v55, -v0
	v_mul_f16_sdwa v0, v3, v56 dst_sel:DWORD dst_unused:UNUSED_PAD src0_sel:WORD_1 src1_sel:DWORD
	v_lshrrev_b32_e32 v57, 16, v23
	v_fma_f16 v55, v3, v22, v0
	v_mul_f16_sdwa v0, v3, v22 dst_sel:DWORD dst_unused:UNUSED_PAD src0_sel:WORD_1 src1_sel:DWORD
	v_fma_f16 v22, v3, v56, -v0
	v_mul_f16_sdwa v0, v4, v57 dst_sel:DWORD dst_unused:UNUSED_PAD src0_sel:WORD_1 src1_sel:DWORD
	s_waitcnt lgkmcnt(1)
	v_lshrrev_b32_e32 v58, 16, v24
	v_fma_f16 v56, v4, v23, v0
	v_mul_f16_sdwa v0, v4, v23 dst_sel:DWORD dst_unused:UNUSED_PAD src0_sel:WORD_1 src1_sel:DWORD
	v_fma_f16 v23, v4, v57, -v0
	v_mul_f16_sdwa v0, v5, v58 dst_sel:DWORD dst_unused:UNUSED_PAD src0_sel:WORD_1 src1_sel:DWORD
	v_lshrrev_b32_e32 v59, 16, v25
	v_fma_f16 v57, v5, v24, v0
	v_mul_f16_sdwa v0, v5, v24 dst_sel:DWORD dst_unused:UNUSED_PAD src0_sel:WORD_1 src1_sel:DWORD
	ds_read2_b32 v[48:49], v28 offset0:170 offset1:187
	v_fma_f16 v24, v5, v58, -v0
	v_mul_f16_sdwa v0, v6, v59 dst_sel:DWORD dst_unused:UNUSED_PAD src0_sel:WORD_1 src1_sel:DWORD
	s_waitcnt lgkmcnt(1)
	v_lshrrev_b32_e32 v60, 16, v26
	v_fma_f16 v5, v6, v25, v0
	v_mul_f16_sdwa v0, v6, v25 dst_sel:DWORD dst_unused:UNUSED_PAD src0_sel:WORD_1 src1_sel:DWORD
	v_fma_f16 v6, v6, v59, -v0
	v_mul_f16_sdwa v0, v7, v60 dst_sel:DWORD dst_unused:UNUSED_PAD src0_sel:WORD_1 src1_sel:DWORD
	v_lshrrev_b32_e32 v61, 16, v27
	v_fma_f16 v1, v7, v26, v0
	v_mul_f16_sdwa v0, v7, v26 dst_sel:DWORD dst_unused:UNUSED_PAD src0_sel:WORD_1 src1_sel:DWORD
	ds_read2_b32 v[50:51], v28 offset0:204 offset1:221
	;; [unrolled: 12-line block ×3, first 2 shown]
	v_fma_f16 v8, v9, v62, -v0
	v_mul_f16_sdwa v0, v10, v63 dst_sel:DWORD dst_unused:UNUSED_PAD src0_sel:WORD_1 src1_sel:DWORD
	s_waitcnt lgkmcnt(1)
	v_lshrrev_b32_e32 v65, 16, v50
	v_fma_f16 v9, v10, v49, v0
	v_mul_f16_sdwa v0, v10, v49 dst_sel:DWORD dst_unused:UNUSED_PAD src0_sel:WORD_1 src1_sel:DWORD
	v_fma_f16 v10, v10, v63, -v0
	v_mul_f16_sdwa v0, v11, v65 dst_sel:DWORD dst_unused:UNUSED_PAD src0_sel:WORD_1 src1_sel:DWORD
	v_lshrrev_b32_e32 v66, 16, v51
	v_fma_f16 v25, v11, v50, v0
	v_mul_f16_sdwa v0, v11, v50 dst_sel:DWORD dst_unused:UNUSED_PAD src0_sel:WORD_1 src1_sel:DWORD
	ds_read_b32 v64, v28 offset:1088
	v_fma_f16 v11, v11, v65, -v0
	v_mul_f16_sdwa v0, v12, v66 dst_sel:DWORD dst_unused:UNUSED_PAD src0_sel:WORD_1 src1_sel:DWORD
	s_waitcnt lgkmcnt(1)
	v_lshrrev_b32_e32 v67, 16, v52
	v_fma_f16 v26, v12, v51, v0
	v_mul_f16_sdwa v0, v12, v51 dst_sel:DWORD dst_unused:UNUSED_PAD src0_sel:WORD_1 src1_sel:DWORD
	v_fma_f16 v12, v12, v66, -v0
	v_mul_f16_sdwa v0, v13, v67 dst_sel:DWORD dst_unused:UNUSED_PAD src0_sel:WORD_1 src1_sel:DWORD
	v_lshrrev_b32_e32 v68, 16, v53
	v_fma_f16 v27, v13, v52, v0
	v_mul_f16_sdwa v0, v13, v52 dst_sel:DWORD dst_unused:UNUSED_PAD src0_sel:WORD_1 src1_sel:DWORD
	v_fma_f16 v13, v13, v67, -v0
	v_mul_f16_sdwa v0, v14, v68 dst_sel:DWORD dst_unused:UNUSED_PAD src0_sel:WORD_1 src1_sel:DWORD
	s_waitcnt lgkmcnt(0)
	v_lshrrev_b32_e32 v69, 16, v64
	v_fma_f16 v48, v14, v53, v0
	v_mul_f16_sdwa v0, v14, v53 dst_sel:DWORD dst_unused:UNUSED_PAD src0_sel:WORD_1 src1_sel:DWORD
	v_fma_f16 v14, v14, v68, -v0
	v_mul_f16_sdwa v0, v15, v69 dst_sel:DWORD dst_unused:UNUSED_PAD src0_sel:WORD_1 src1_sel:DWORD
	v_fma_f16 v49, v15, v64, v0
	v_mul_f16_sdwa v0, v15, v64 dst_sel:DWORD dst_unused:UNUSED_PAD src0_sel:WORD_1 src1_sel:DWORD
	v_fma_f16 v15, v15, v69, -v0
	v_add_f16_e32 v0, v70, v18
	v_add_f16_sdwa v50, v19, v18 dst_sel:DWORD dst_unused:UNUSED_PAD src0_sel:DWORD src1_sel:WORD_1
	v_add_f16_e32 v0, v0, v47
	v_add_f16_e32 v50, v50, v20
	;; [unrolled: 1-line block ×29, first 2 shown]
	v_add_f16_sdwa v50, v50, v15 dst_sel:WORD_1 dst_unused:UNUSED_PAD src0_sel:DWORD src1_sel:DWORD
	v_add_f16_e32 v51, v19, v15
	v_sub_f16_e32 v15, v19, v15
	v_or_b32_e32 v0, v50, v0
	v_add_f16_e32 v50, v70, v49
	v_sub_f16_e32 v49, v70, v49
	v_mul_f16_e32 v19, 0xb5c8, v15
	v_mul_f16_e32 v53, 0x3b76, v51
	;; [unrolled: 1-line block ×16, first 2 shown]
	v_fma_f16 v52, v50, s14, v19
	v_fma_f16 v58, v49, s30, v53
	v_fma_f16 v19, v50, s14, -v19
	v_fma_f16 v53, v49, s24, v53
	v_fma_f16 v60, v50, s12, v59
	v_fma_f16 v62, v49, s26, v61
	v_fma_f16 v59, v50, s12, -v59
	v_fma_f16 v61, v49, s20, v61
	;; [unrolled: 4-line block ×8, first 2 shown]
	v_add_f16_e32 v50, v20, v14
	v_sub_f16_e32 v14, v20, v14
	v_add_f16_e32 v52, v52, v18
	v_add_f16_sdwa v58, v58, v18 dst_sel:DWORD dst_unused:UNUSED_PAD src0_sel:DWORD src1_sel:WORD_1
	v_add_f16_e32 v19, v19, v18
	v_add_f16_sdwa v53, v53, v18 dst_sel:DWORD dst_unused:UNUSED_PAD src0_sel:DWORD src1_sel:WORD_1
	;; [unrolled: 2-line block ×16, first 2 shown]
	v_add_f16_e32 v49, v47, v48
	v_mul_f16_e32 v20, 0xb964, v14
	v_sub_f16_e32 v47, v47, v48
	v_fma_f16 v48, v49, s12, v20
	v_mul_f16_e32 v51, 0x39e9, v50
	v_fma_f16 v20, v49, s12, -v20
	v_add_f16_e32 v48, v48, v52
	v_fma_f16 v52, v47, s26, v51
	v_add_f16_e32 v19, v20, v19
	v_fma_f16 v20, v47, s20, v51
	v_mul_f16_e32 v51, 0xbbf7, v14
	v_add_f16_e32 v52, v52, v58
	v_add_f16_e32 v20, v20, v53
	v_fma_f16 v53, v49, s6, v51
	v_mul_f16_e32 v58, 0x2de8, v50
	v_fma_f16 v51, v49, s6, -v51
	v_add_f16_e32 v53, v53, v60
	v_fma_f16 v60, v47, s21, v58
	v_add_f16_e32 v51, v51, v59
	v_fma_f16 v58, v47, s2, v58
	v_mul_f16_e32 v59, 0xba62, v14
	v_add_f16_e32 v60, v60, v62
	v_add_f16_e32 v58, v58, v61
	;; [unrolled: 10-line block ×6, first 2 shown]
	v_fma_f16 v77, v49, s7, v75
	v_mul_f16_e32 v78, 0x3722, v50
	v_fma_f16 v75, v49, s7, -v75
	v_mul_f16_e32 v14, 0x35c8, v14
	v_add_f16_e32 v77, v77, v80
	v_fma_f16 v80, v47, s18, v78
	v_add_f16_e32 v75, v75, v79
	v_fma_f16 v78, v47, s23, v78
	v_fma_f16 v79, v49, s14, v14
	v_mul_f16_e32 v50, 0x3b76, v50
	v_fma_f16 v14, v49, s14, -v14
	v_add_f16_e32 v78, v78, v81
	v_fma_f16 v81, v47, s24, v50
	v_add_f16_e32 v14, v14, v15
	v_fma_f16 v15, v47, s30, v50
	v_add_f16_e32 v47, v21, v13
	v_sub_f16_e32 v13, v21, v13
	v_add_f16_e32 v15, v15, v18
	v_add_f16_e32 v18, v54, v27
	v_mul_f16_e32 v21, 0xbb29, v13
	v_fma_f16 v49, v18, s7, v21
	v_sub_f16_e32 v27, v54, v27
	v_add_f16_e32 v48, v49, v48
	v_mul_f16_e32 v49, 0x3722, v47
	v_fma_f16 v21, v18, s7, -v21
	v_add_f16_e32 v19, v21, v19
	v_fma_f16 v21, v27, s18, v49
	v_fma_f16 v50, v27, s23, v49
	v_add_f16_e32 v20, v21, v20
	v_mul_f16_e32 v21, 0xba62, v13
	v_add_f16_e32 v50, v50, v52
	v_fma_f16 v49, v18, s15, v21
	v_mul_f16_e32 v52, 0xb8d2, v47
	v_fma_f16 v21, v18, s15, -v21
	v_add_f16_e32 v49, v49, v53
	v_fma_f16 v53, v27, s27, v52
	v_add_f16_e32 v21, v21, v51
	v_fma_f16 v51, v27, s22, v52
	v_mul_f16_e32 v52, 0x31e1, v13
	v_fma_f16 v54, v18, s17, v52
	v_fma_f16 v52, v18, s17, -v52
	v_add_f16_e32 v51, v51, v58
	v_mul_f16_e32 v58, 0xbbdd, v47
	v_add_f16_e32 v52, v52, v59
	v_mul_f16_e32 v59, 0x3bb2, v13
	v_add_f16_e32 v53, v53, v60
	v_add_f16_e32 v54, v54, v61
	v_fma_f16 v60, v27, s29, v58
	v_fma_f16 v58, v27, s31, v58
	v_fma_f16 v61, v18, s13, v59
	v_fma_f16 v59, v18, s13, -v59
	v_add_f16_e32 v58, v58, v62
	v_mul_f16_e32 v62, 0xb461, v47
	v_add_f16_e32 v59, v59, v63
	v_mul_f16_e32 v63, 0x3964, v13
	v_add_f16_e32 v60, v60, v64
	v_add_f16_e32 v61, v61, v65
	v_fma_f16 v64, v27, s3, v62
	v_fma_f16 v62, v27, s19, v62
	;; [unrolled: 10-line block ×4, first 2 shown]
	v_fma_f16 v73, v18, s6, v71
	v_fma_f16 v71, v18, s6, -v71
	v_mul_f16_e32 v13, 0xb836, v13
	v_add_f16_e32 v70, v70, v74
	v_mul_f16_e32 v74, 0x2de8, v47
	v_add_f16_e32 v71, v71, v75
	v_fma_f16 v75, v18, s16, v13
	v_mul_f16_e32 v47, 0xbacd, v47
	v_fma_f16 v13, v18, s16, -v13
	v_add_f16_e32 v13, v13, v14
	v_fma_f16 v14, v27, s25, v47
	v_add_f16_e32 v18, v22, v12
	v_sub_f16_e32 v12, v22, v12
	v_add_f16_e32 v14, v14, v15
	v_add_f16_e32 v15, v55, v26
	v_mul_f16_e32 v22, 0xbbf7, v12
	v_add_f16_e32 v72, v72, v76
	v_add_f16_e32 v73, v73, v77
	v_fma_f16 v76, v27, s21, v74
	v_fma_f16 v74, v27, s2, v74
	;; [unrolled: 1-line block ×3, first 2 shown]
	v_sub_f16_e32 v26, v55, v26
	v_fma_f16 v27, v15, s6, v22
	v_mul_f16_e32 v47, 0x2de8, v18
	v_fma_f16 v22, v15, s6, -v22
	v_add_f16_e32 v19, v22, v19
	v_fma_f16 v22, v26, s2, v47
	v_add_f16_e32 v20, v22, v20
	v_mul_f16_e32 v22, 0xb1e1, v12
	v_add_f16_e32 v27, v27, v48
	v_fma_f16 v48, v26, s21, v47
	v_fma_f16 v47, v15, s17, v22
	v_add_f16_e32 v47, v47, v49
	v_mul_f16_e32 v49, 0xbbdd, v18
	v_fma_f16 v22, v15, s17, -v22
	v_add_f16_e32 v48, v48, v50
	v_fma_f16 v50, v26, s31, v49
	v_add_f16_e32 v21, v22, v21
	v_fma_f16 v22, v26, s29, v49
	v_mul_f16_e32 v49, 0x3bb2, v12
	v_add_f16_e32 v50, v50, v53
	v_add_f16_e32 v22, v22, v51
	v_fma_f16 v51, v15, s13, v49
	v_mul_f16_e32 v53, 0xb461, v18
	v_fma_f16 v49, v15, s13, -v49
	v_add_f16_e32 v51, v51, v54
	v_fma_f16 v54, v26, s3, v53
	v_add_f16_e32 v49, v49, v52
	v_fma_f16 v52, v26, s19, v53
	v_mul_f16_e32 v53, 0x35c8, v12
	v_fma_f16 v55, v15, s14, v53
	v_fma_f16 v53, v15, s14, -v53
	v_add_f16_e32 v52, v52, v58
	v_mul_f16_e32 v58, 0x3b76, v18
	v_add_f16_e32 v53, v53, v59
	v_mul_f16_e32 v59, 0xbb29, v12
	v_add_f16_e32 v54, v54, v60
	v_add_f16_e32 v55, v55, v61
	v_fma_f16 v60, v26, s24, v58
	v_fma_f16 v58, v26, s30, v58
	v_fma_f16 v61, v15, s7, v59
	v_fma_f16 v59, v15, s7, -v59
	v_add_f16_e32 v58, v58, v62
	v_mul_f16_e32 v62, 0x3722, v18
	v_add_f16_e32 v59, v59, v63
	v_mul_f16_e32 v63, 0xb836, v12
	v_add_f16_e32 v60, v60, v64
	v_add_f16_e32 v61, v61, v65
	v_fma_f16 v64, v26, s23, v62
	v_fma_f16 v62, v26, s18, v62
	;; [unrolled: 10-line block ×3, first 2 shown]
	v_fma_f16 v69, v15, s15, v67
	v_fma_f16 v67, v15, s15, -v67
	v_mul_f16_e32 v12, 0x3964, v12
	v_add_f16_e32 v66, v66, v70
	v_mul_f16_e32 v70, 0xb8d2, v18
	v_add_f16_e32 v67, v67, v71
	v_fma_f16 v71, v15, s12, v12
	v_mul_f16_e32 v18, 0x39e9, v18
	v_fma_f16 v12, v15, s12, -v12
	v_add_f16_e32 v12, v12, v13
	v_fma_f16 v13, v26, s26, v18
	v_add_f16_e32 v15, v23, v11
	v_sub_f16_e32 v11, v23, v11
	v_add_f16_e32 v13, v13, v14
	v_add_f16_e32 v14, v56, v25
	v_mul_f16_e32 v23, 0xbbb2, v11
	v_add_f16_e32 v68, v68, v72
	v_add_f16_e32 v69, v69, v73
	v_fma_f16 v72, v26, s22, v70
	v_fma_f16 v70, v26, s27, v70
	;; [unrolled: 1-line block ×3, first 2 shown]
	v_sub_f16_e32 v18, v56, v25
	v_fma_f16 v25, v14, s13, v23
	v_mul_f16_e32 v26, 0xb461, v15
	v_fma_f16 v23, v14, s13, -v23
	v_add_f16_e32 v19, v23, v19
	v_fma_f16 v23, v18, s3, v26
	v_add_f16_e32 v20, v23, v20
	v_mul_f16_e32 v23, 0x3836, v11
	v_add_f16_e32 v25, v25, v27
	v_fma_f16 v27, v18, s19, v26
	v_fma_f16 v26, v14, s16, v23
	v_add_f16_e32 v26, v26, v47
	v_mul_f16_e32 v47, 0xbacd, v15
	v_fma_f16 v23, v14, s16, -v23
	v_add_f16_e32 v21, v23, v21
	v_fma_f16 v23, v18, s28, v47
	v_add_f16_e32 v27, v27, v48
	v_fma_f16 v48, v18, s25, v47
	v_add_f16_e32 v22, v23, v22
	v_mul_f16_e32 v23, 0x3964, v11
	v_add_f16_e32 v48, v48, v50
	v_fma_f16 v47, v14, s12, v23
	v_mul_f16_e32 v50, 0x39e9, v15
	v_fma_f16 v23, v14, s12, -v23
	v_add_f16_e32 v47, v47, v51
	v_fma_f16 v51, v18, s20, v50
	v_add_f16_e32 v23, v23, v49
	v_fma_f16 v49, v18, s26, v50
	v_mul_f16_e32 v50, 0xbb29, v11
	v_add_f16_e32 v51, v51, v54
	v_add_f16_e32 v49, v49, v52
	v_fma_f16 v52, v14, s7, v50
	v_mul_f16_e32 v54, 0x3722, v15
	v_fma_f16 v50, v14, s7, -v50
	v_add_f16_e32 v52, v52, v55
	v_fma_f16 v55, v18, s23, v54
	v_add_f16_e32 v50, v50, v53
	v_fma_f16 v53, v18, s18, v54
	v_mul_f16_e32 v54, 0xb1e1, v11
	v_fma_f16 v56, v14, s17, v54
	v_fma_f16 v54, v14, s17, -v54
	v_add_f16_e32 v53, v53, v58
	v_mul_f16_e32 v58, 0xbbdd, v15
	v_add_f16_e32 v54, v54, v59
	v_mul_f16_e32 v59, 0x3bf7, v11
	v_add_f16_e32 v55, v55, v60
	v_add_f16_e32 v56, v56, v61
	v_fma_f16 v60, v18, s31, v58
	v_fma_f16 v58, v18, s29, v58
	;; [unrolled: 1-line block ×3, first 2 shown]
	v_fma_f16 v59, v14, s6, -v59
	v_add_f16_e32 v58, v58, v62
	v_mul_f16_e32 v62, 0x2de8, v15
	v_add_f16_e32 v59, v59, v63
	v_mul_f16_e32 v63, 0xb5c8, v11
	v_add_f16_e32 v60, v60, v64
	v_add_f16_e32 v61, v61, v65
	v_fma_f16 v64, v18, s2, v62
	v_fma_f16 v62, v18, s21, v62
	;; [unrolled: 1-line block ×3, first 2 shown]
	v_fma_f16 v63, v14, s14, -v63
	v_mul_f16_e32 v11, 0xba62, v11
	v_add_f16_e32 v62, v62, v66
	v_mul_f16_e32 v66, 0x3b76, v15
	v_add_f16_e32 v63, v63, v67
	v_fma_f16 v67, v14, s15, v11
	v_mul_f16_e32 v15, 0xb8d2, v15
	v_fma_f16 v11, v14, s15, -v11
	v_add_f16_e32 v11, v11, v12
	v_fma_f16 v12, v18, s22, v15
	v_add_f16_e32 v14, v24, v10
	v_sub_f16_e32 v10, v24, v10
	v_add_f16_e32 v65, v65, v69
	v_fma_f16 v69, v18, s27, v15
	v_add_f16_e32 v12, v12, v13
	v_add_f16_e32 v13, v57, v9
	v_mul_f16_e32 v15, 0xba62, v10
	v_add_f16_e32 v64, v64, v68
	v_fma_f16 v68, v18, s30, v66
	v_fma_f16 v66, v18, s24, v66
	v_sub_f16_e32 v9, v57, v9
	v_fma_f16 v18, v13, s15, v15
	v_mul_f16_e32 v24, 0xb8d2, v14
	v_fma_f16 v15, v13, s15, -v15
	v_add_f16_e32 v15, v15, v19
	v_fma_f16 v19, v9, s22, v24
	v_add_f16_e32 v19, v19, v20
	v_mul_f16_e32 v20, 0x3bb2, v10
	v_add_f16_e32 v18, v18, v25
	v_fma_f16 v25, v9, s27, v24
	v_fma_f16 v24, v13, s13, v20
	v_add_f16_e32 v24, v24, v26
	v_mul_f16_e32 v26, 0xb461, v14
	v_fma_f16 v20, v13, s13, -v20
	v_add_f16_e32 v20, v20, v21
	v_fma_f16 v21, v9, s19, v26
	v_add_f16_e32 v21, v21, v22
	v_mul_f16_e32 v22, 0xb5c8, v10
	v_add_f16_e32 v25, v25, v27
	v_fma_f16 v27, v9, s3, v26
	v_fma_f16 v26, v13, s14, v22
	v_add_f16_e32 v26, v26, v47
	v_mul_f16_e32 v47, 0x3b76, v14
	v_fma_f16 v22, v13, s14, -v22
	v_add_f16_e32 v27, v27, v48
	v_fma_f16 v48, v9, s30, v47
	v_add_f16_e32 v22, v22, v23
	v_fma_f16 v23, v9, s24, v47
	v_mul_f16_e32 v47, 0xb836, v10
	v_add_f16_e32 v48, v48, v51
	v_add_f16_e32 v23, v23, v49
	v_fma_f16 v49, v13, s16, v47
	v_mul_f16_e32 v51, 0xbacd, v14
	v_fma_f16 v47, v13, s16, -v47
	v_add_f16_e32 v49, v49, v52
	v_fma_f16 v52, v9, s28, v51
	v_add_f16_e32 v47, v47, v50
	v_fma_f16 v50, v9, s25, v51
	v_mul_f16_e32 v51, 0x3bf7, v10
	v_add_f16_e32 v52, v52, v55
	v_add_f16_e32 v50, v50, v53
	v_fma_f16 v53, v13, s6, v51
	v_mul_f16_e32 v55, 0x2de8, v14
	v_fma_f16 v51, v13, s6, -v51
	v_add_f16_e32 v53, v53, v56
	v_fma_f16 v56, v9, s2, v55
	v_add_f16_e32 v51, v51, v54
	v_fma_f16 v54, v9, s21, v55
	v_mul_f16_e32 v55, 0xb964, v10
	v_add_f16_e32 v54, v54, v58
	v_fma_f16 v57, v13, s12, v55
	v_mul_f16_e32 v58, 0x39e9, v14
	v_fma_f16 v55, v13, s12, -v55
	v_add_f16_e32 v56, v56, v60
	v_fma_f16 v60, v9, s26, v58
	v_add_f16_e32 v55, v55, v59
	v_fma_f16 v58, v9, s20, v58
	v_mul_f16_e32 v59, 0xb1e1, v10
	v_add_f16_e32 v57, v57, v61
	v_add_f16_e32 v58, v58, v62
	v_fma_f16 v61, v13, s17, v59
	v_mul_f16_e32 v62, 0xbbdd, v14
	v_mul_f16_e32 v14, 0x3722, v14
	v_add_f16_e32 v60, v60, v64
	v_add_f16_e32 v61, v61, v65
	v_fma_f16 v64, v9, s31, v62
	v_fma_f16 v59, v13, s17, -v59
	v_fma_f16 v62, v9, s29, v62
	v_mul_f16_e32 v10, 0x3b29, v10
	v_fma_f16 v65, v9, s18, v14
	v_fma_f16 v9, v9, s23, v14
	v_add_f16_e32 v59, v59, v63
	v_fma_f16 v63, v13, s7, v10
	v_fma_f16 v10, v13, s7, -v10
	v_add_f16_e32 v9, v9, v12
	v_add_f16_e32 v12, v6, v8
	v_sub_f16_e32 v6, v6, v8
	v_add_f16_e32 v10, v10, v11
	v_add_f16_e32 v11, v5, v7
	v_sub_f16_e32 v5, v5, v7
	v_mul_f16_e32 v7, 0xb836, v6
	v_fma_f16 v8, v11, s16, v7
	v_mul_f16_e32 v13, 0xbacd, v12
	v_fma_f16 v7, v11, s16, -v7
	v_fma_f16 v14, v5, s28, v13
	v_add_f16_e32 v7, v7, v15
	v_fma_f16 v13, v5, s25, v13
	v_mul_f16_e32 v15, 0x3b29, v6
	v_add_f16_e32 v8, v8, v18
	v_add_f16_e32 v13, v13, v19
	v_fma_f16 v18, v11, s7, v15
	v_mul_f16_e32 v19, 0x3722, v12
	v_fma_f16 v15, v11, s7, -v15
	v_add_f16_e32 v18, v18, v24
	v_fma_f16 v24, v5, s18, v19
	v_add_f16_e32 v15, v15, v20
	v_fma_f16 v19, v5, s23, v19
	v_mul_f16_e32 v20, 0xbbf7, v6
	v_add_f16_e32 v14, v14, v25
	v_add_f16_e32 v19, v19, v21
	v_fma_f16 v21, v11, s6, v20
	v_mul_f16_e32 v25, 0x2de8, v12
	v_fma_f16 v20, v11, s6, -v20
	v_add_f16_e32 v20, v20, v22
	v_fma_f16 v22, v5, s2, v25
	v_add_f16_e32 v22, v22, v23
	v_mul_f16_e32 v23, 0x3a62, v6
	v_add_f16_e32 v21, v21, v26
	v_fma_f16 v26, v5, s21, v25
	v_fma_f16 v25, v11, s15, v23
	v_fma_f16 v23, v11, s15, -v23
	v_add_f16_e32 v24, v24, v27
	v_mul_f16_e32 v27, 0xb8d2, v12
	v_add_f16_e32 v23, v23, v47
	v_mul_f16_e32 v47, 0xb5c8, v6
	v_add_f16_e32 v26, v26, v48
	v_add_f16_e32 v25, v25, v49
	v_fma_f16 v48, v5, s22, v27
	v_fma_f16 v27, v5, s27, v27
	v_fma_f16 v49, v11, s14, v47
	v_fma_f16 v47, v11, s14, -v47
	v_add_f16_e32 v27, v27, v50
	v_mul_f16_e32 v50, 0x3b76, v12
	v_add_f16_e32 v47, v47, v51
	v_mul_f16_e32 v51, 0xb1e1, v6
	v_add_f16_e32 v48, v48, v52
	v_add_f16_e32 v49, v49, v53
	v_fma_f16 v52, v5, s30, v50
	;; [unrolled: 10-line block ×3, first 2 shown]
	v_fma_f16 v54, v5, s29, v54
	v_fma_f16 v57, v11, s12, v55
	v_fma_f16 v55, v11, s12, -v55
	v_mul_f16_e32 v6, 0xbbb2, v6
	v_add_f16_e32 v54, v54, v58
	v_mul_f16_e32 v58, 0x39e9, v12
	v_add_f16_e32 v55, v55, v59
	v_fma_f16 v59, v11, s13, v6
	v_mul_f16_e32 v12, 0xb461, v12
	v_fma_f16 v6, v11, s13, -v6
	v_add_f16_e32 v56, v56, v60
	v_add_f16_e32 v57, v57, v61
	v_fma_f16 v60, v5, s20, v58
	v_fma_f16 v58, v5, s26, v58
	;; [unrolled: 1-line block ×3, first 2 shown]
	v_add_f16_e32 v6, v6, v10
	v_fma_f16 v5, v5, s3, v12
	v_add_f16_e32 v10, v2, v4
	v_sub_f16_e32 v2, v2, v4
	v_add_f16_e32 v5, v5, v9
	v_add_f16_e32 v9, v1, v3
	v_sub_f16_e32 v1, v1, v3
	v_mul_f16_e32 v3, 0xb1e1, v2
	v_fma_f16 v4, v9, s17, v3
	v_add_f16_e32 v4, v4, v8
	v_mul_f16_e32 v8, 0xbbdd, v10
	v_fma_f16 v3, v9, s17, -v3
	v_fma_f16 v11, v1, s31, v8
	v_add_f16_e32 v3, v3, v7
	v_fma_f16 v7, v1, s29, v8
	v_mul_f16_e32 v8, 0x35c8, v2
	v_add_f16_e32 v7, v7, v13
	v_fma_f16 v12, v9, s14, v8
	v_mul_f16_e32 v13, 0x3b76, v10
	v_fma_f16 v8, v9, s14, -v8
	v_add_f16_e32 v11, v11, v14
	v_fma_f16 v14, v1, s24, v13
	v_add_f16_e32 v8, v8, v15
	v_fma_f16 v13, v1, s30, v13
	v_mul_f16_e32 v15, 0xb836, v2
	v_add_f16_e32 v12, v12, v18
	v_add_f16_e32 v13, v13, v19
	v_fma_f16 v18, v9, s16, v15
	v_mul_f16_e32 v19, 0xbacd, v10
	v_fma_f16 v15, v9, s16, -v15
	v_add_f16_e32 v18, v18, v21
	v_fma_f16 v21, v1, s28, v19
	v_add_f16_e32 v15, v15, v20
	v_fma_f16 v19, v1, s25, v19
	v_mul_f16_e32 v20, 0x3964, v2
	v_add_f16_e32 v14, v14, v24
	v_add_f16_e32 v19, v19, v22
	v_fma_f16 v22, v9, s12, v20
	v_mul_f16_e32 v24, 0x39e9, v10
	v_fma_f16 v20, v9, s12, -v20
	v_add_f16_e32 v20, v20, v23
	v_fma_f16 v23, v1, s26, v24
	v_add_f16_e32 v80, v80, v82
	v_add_f16_e32 v22, v22, v25
	v_fma_f16 v25, v1, s20, v24
	v_add_f16_e32 v23, v23, v27
	v_mul_f16_e32 v24, 0xba62, v2
	v_mul_f16_e32 v27, 0xb8d2, v10
	v_add_f16_e32 v79, v79, v83
	v_add_f16_e32 v81, v81, v84
	;; [unrolled: 1-line block ×5, first 2 shown]
	v_fma_f16 v26, v9, s15, v24
	v_fma_f16 v48, v1, s27, v27
	v_fma_f16 v24, v9, s15, -v24
	v_fma_f16 v27, v1, s22, v27
	v_add_f16_e32 v75, v75, v79
	v_add_f16_e32 v77, v77, v81
	;; [unrolled: 1-line block ×5, first 2 shown]
	v_mul_f16_e32 v47, 0x3b29, v2
	v_mul_f16_e32 v50, 0x3722, v10
	v_add_f16_e32 v74, v74, v78
	v_add_f16_e32 v71, v71, v75
	;; [unrolled: 1-line block ×6, first 2 shown]
	v_fma_f16 v49, v9, s7, v47
	v_fma_f16 v52, v1, s18, v50
	v_fma_f16 v47, v9, s7, -v47
	v_fma_f16 v50, v1, s23, v50
	v_add_f16_e32 v70, v70, v74
	v_add_f16_e32 v67, v67, v71
	;; [unrolled: 1-line block ×6, first 2 shown]
	v_mul_f16_e32 v51, 0xbbb2, v2
	v_mul_f16_e32 v54, 0xb461, v10
	v_pack_b32_f16 v4, v4, v11
	v_add_f16_e32 v66, v66, v70
	v_add_f16_e32 v63, v63, v67
	;; [unrolled: 1-line block ×6, first 2 shown]
	v_fma_f16 v53, v9, s13, v51
	v_fma_f16 v56, v1, s19, v54
	v_fma_f16 v51, v9, s13, -v51
	v_mul_f16_e32 v2, 0x3bf7, v2
	v_mul_f16_e32 v10, 0x2de8, v10
	ds_write2_b32 v28, v0, v4 offset1:17
	v_pack_b32_f16 v0, v12, v14
	v_pack_b32_f16 v4, v18, v21
	v_add_f16_e32 v62, v62, v66
	v_add_f16_e32 v59, v59, v63
	;; [unrolled: 1-line block ×6, first 2 shown]
	v_fma_f16 v54, v1, s3, v54
	v_fma_f16 v55, v9, s6, v2
	;; [unrolled: 1-line block ×3, first 2 shown]
	v_fma_f16 v2, v9, s6, -v2
	v_fma_f16 v1, v1, s21, v10
	ds_write2_b32 v28, v0, v4 offset0:34 offset1:51
	v_pack_b32_f16 v0, v22, v25
	v_pack_b32_f16 v4, v26, v48
	v_add_f16_e32 v58, v58, v62
	v_add_f16_e32 v55, v55, v59
	;; [unrolled: 1-line block ×5, first 2 shown]
	ds_write2_b32 v28, v0, v4 offset0:68 offset1:85
	v_pack_b32_f16 v0, v49, v52
	v_pack_b32_f16 v4, v53, v56
	v_add_f16_e32 v54, v54, v58
	ds_write2_b32 v28, v0, v4 offset0:102 offset1:119
	v_pack_b32_f16 v0, v55, v57
	v_pack_b32_f16 v1, v2, v1
	ds_write2_b32 v28, v0, v1 offset0:136 offset1:153
	v_pack_b32_f16 v0, v51, v54
	v_pack_b32_f16 v1, v47, v50
	;; [unrolled: 3-line block ×4, first 2 shown]
	ds_write2_b32 v28, v0, v1 offset0:238 offset1:255
	v_pack_b32_f16 v0, v3, v7
	ds_write_b32 v28, v0 offset:1088
	s_waitcnt lgkmcnt(0)
	s_barrier
	ds_read2_b32 v[2:3], v28 offset1:17
	v_mad_u64_u32 v[4:5], s[0:1], s10, v16, 0
	v_mov_b32_e32 v0, v5
	s_mov_b32 s2, 0xd10d4986
	s_waitcnt lgkmcnt(0)
	v_lshrrev_b32_e32 v6, 16, v2
	v_mul_f16_sdwa v1, v46, v6 dst_sel:DWORD dst_unused:UNUSED_PAD src0_sel:WORD_1 src1_sel:DWORD
	v_fma_f16 v1, v46, v2, v1
	v_cvt_f32_f16_e32 v7, v1
	v_mad_u64_u32 v[0:1], s[0:1], s11, v16, v[0:1]
	v_mov_b32_e32 v5, v0
	v_cvt_f64_f32_e32 v[0:1], v7
	s_mov_b32 s3, 0x3f6c5894
	v_mul_f64 v[0:1], v[0:1], s[2:3]
	s_movk_i32 s6, 0x1ff
	v_and_or_b32 v0, v1, s6, v0
	v_cmp_ne_u32_e32 vcc, 0, v0
	v_cndmask_b32_e64 v0, 0, 1, vcc
	v_lshrrev_b32_e32 v7, 8, v1
	s_movk_i32 s7, 0xffe
	v_bfe_u32 v8, v1, 20, 11
	v_and_or_b32 v7, v7, s7, v0
	v_sub_u32_e32 v9, 0x3f1, v8
	v_or_b32_e32 v0, 0x1000, v7
	v_med3_i32 v9, v9, 0, 13
	v_lshrrev_b32_e32 v10, v9, v0
	v_lshlrev_b32_e32 v9, v9, v10
	v_cmp_ne_u32_e32 vcc, v9, v0
	v_cndmask_b32_e64 v0, 0, 1, vcc
	v_add_u32_e32 v8, 0xfffffc10, v8
	v_or_b32_e32 v0, v10, v0
	v_lshl_or_b32 v9, v8, 12, v7
	v_cmp_gt_i32_e32 vcc, 1, v8
	v_cndmask_b32_e32 v0, v9, v0, vcc
	v_and_b32_e32 v9, 7, v0
	v_cmp_lt_i32_e32 vcc, 5, v9
	v_cmp_eq_u32_e64 s[0:1], 3, v9
	v_lshrrev_b32_e32 v0, 2, v0
	s_or_b64 vcc, s[0:1], vcc
	v_addc_co_u32_e32 v9, vcc, 0, v0, vcc
	v_mul_f16_sdwa v2, v46, v2 dst_sel:DWORD dst_unused:UNUSED_PAD src0_sel:WORD_1 src1_sel:DWORD
	v_mov_b32_e32 v0, 0x7c00
	v_cmp_gt_i32_e32 vcc, 31, v8
	v_fma_f16 v2, v46, v6, -v2
	v_cndmask_b32_e32 v9, v0, v9, vcc
	v_cmp_ne_u32_e32 vcc, 0, v7
	v_cvt_f32_f16_e32 v2, v2
	v_cndmask_b32_e64 v7, 0, 1, vcc
	s_movk_i32 s10, 0x40f
	v_lshl_or_b32 v7, v7, 9, v0
	v_cmp_eq_u32_e32 vcc, s10, v8
	v_cndmask_b32_e32 v7, v9, v7, vcc
	v_lshrrev_b32_e32 v1, 16, v1
	s_mov_b32 s11, 0x8000
	v_and_or_b32 v1, v1, s11, v7
	v_cvt_f64_f32_e32 v[6:7], v2
	v_mul_f64 v[6:7], v[6:7], s[2:3]
	v_and_or_b32 v2, v7, s6, v6
	v_cmp_ne_u32_e32 vcc, 0, v2
	v_cndmask_b32_e64 v2, 0, 1, vcc
	v_lshrrev_b32_e32 v6, 8, v7
	v_bfe_u32 v8, v7, 20, 11
	v_and_or_b32 v2, v6, s7, v2
	v_sub_u32_e32 v9, 0x3f1, v8
	v_or_b32_e32 v6, 0x1000, v2
	v_med3_i32 v9, v9, 0, 13
	v_lshrrev_b32_e32 v10, v9, v6
	v_lshlrev_b32_e32 v9, v9, v10
	v_cmp_ne_u32_e32 vcc, v9, v6
	v_cndmask_b32_e64 v6, 0, 1, vcc
	v_add_u32_e32 v8, 0xfffffc10, v8
	v_or_b32_e32 v6, v10, v6
	v_lshl_or_b32 v9, v8, 12, v2
	v_cmp_gt_i32_e32 vcc, 1, v8
	v_cndmask_b32_e32 v6, v9, v6, vcc
	v_and_b32_e32 v9, 7, v6
	v_cmp_lt_i32_e32 vcc, 5, v9
	v_cmp_eq_u32_e64 s[0:1], 3, v9
	v_lshrrev_b32_e32 v6, 2, v6
	s_or_b64 vcc, s[0:1], vcc
	v_addc_co_u32_e32 v6, vcc, 0, v6, vcc
	v_cmp_gt_i32_e32 vcc, 31, v8
	v_cndmask_b32_e32 v6, v0, v6, vcc
	v_cmp_ne_u32_e32 vcc, 0, v2
	v_cndmask_b32_e64 v2, 0, 1, vcc
	v_lshl_or_b32 v2, v2, 9, v0
	v_cmp_eq_u32_e32 vcc, s10, v8
	v_cndmask_b32_e32 v2, v6, v2, vcc
	v_lshrrev_b32_e32 v6, 16, v7
	v_and_or_b32 v10, v6, s11, v2
	v_mad_u64_u32 v[6:7], s[0:1], s8, v45, 0
	v_mov_b32_e32 v2, v7
	v_mad_u64_u32 v[8:9], s[0:1], s9, v45, v[2:3]
	v_lshlrev_b64 v[4:5], 2, v[4:5]
	v_mov_b32_e32 v7, v8
	v_mov_b32_e32 v2, s5
	v_add_co_u32_e32 v8, vcc, s4, v4
	v_lshrrev_b32_e32 v9, 16, v3
	v_addc_co_u32_e32 v2, vcc, v2, v5, vcc
	v_lshlrev_b64 v[4:5], 2, v[6:7]
	v_mul_f16_sdwa v6, v44, v9 dst_sel:DWORD dst_unused:UNUSED_PAD src0_sel:WORD_1 src1_sel:DWORD
	v_fma_f16 v6, v44, v3, v6
	v_cvt_f32_f16_e32 v6, v6
	v_and_b32_e32 v1, 0xffff, v1
	v_add_co_u32_e32 v4, vcc, v8, v4
	v_cvt_f64_f32_e32 v[6:7], v6
	v_lshl_or_b32 v1, v10, 16, v1
	v_addc_co_u32_e32 v5, vcc, v2, v5, vcc
	v_mul_f64 v[6:7], v[6:7], s[2:3]
	global_store_dword v[4:5], v1, off
	v_and_or_b32 v1, v7, s6, v6
	v_cmp_ne_u32_e32 vcc, 0, v1
	v_cndmask_b32_e64 v1, 0, 1, vcc
	v_lshrrev_b32_e32 v2, 8, v7
	v_bfe_u32 v6, v7, 20, 11
	v_and_or_b32 v1, v2, s7, v1
	v_sub_u32_e32 v8, 0x3f1, v6
	v_or_b32_e32 v2, 0x1000, v1
	v_med3_i32 v8, v8, 0, 13
	v_lshrrev_b32_e32 v10, v8, v2
	v_lshlrev_b32_e32 v8, v8, v10
	v_cmp_ne_u32_e32 vcc, v8, v2
	v_cndmask_b32_e64 v2, 0, 1, vcc
	v_add_u32_e32 v6, 0xfffffc10, v6
	v_or_b32_e32 v2, v10, v2
	v_lshl_or_b32 v8, v6, 12, v1
	v_cmp_gt_i32_e32 vcc, 1, v6
	v_cndmask_b32_e32 v2, v8, v2, vcc
	v_and_b32_e32 v8, 7, v2
	v_cmp_lt_i32_e32 vcc, 5, v8
	v_cmp_eq_u32_e64 s[0:1], 3, v8
	v_lshrrev_b32_e32 v2, 2, v2
	s_or_b64 vcc, s[0:1], vcc
	v_addc_co_u32_e32 v2, vcc, 0, v2, vcc
	v_mul_f16_sdwa v3, v44, v3 dst_sel:DWORD dst_unused:UNUSED_PAD src0_sel:WORD_1 src1_sel:DWORD
	v_cmp_gt_i32_e32 vcc, 31, v6
	v_fma_f16 v3, v44, v9, -v3
	v_cndmask_b32_e32 v2, v0, v2, vcc
	v_cmp_ne_u32_e32 vcc, 0, v1
	v_cvt_f32_f16_e32 v3, v3
	v_cndmask_b32_e64 v1, 0, 1, vcc
	v_lshl_or_b32 v1, v1, 9, v0
	v_cmp_eq_u32_e32 vcc, s10, v6
	v_cndmask_b32_e32 v1, v2, v1, vcc
	v_lshrrev_b32_e32 v2, 16, v7
	v_and_or_b32 v1, v2, s11, v1
	v_cvt_f64_f32_e32 v[2:3], v3
	v_mul_f64 v[2:3], v[2:3], s[2:3]
	v_and_or_b32 v2, v3, s6, v2
	v_cmp_ne_u32_e32 vcc, 0, v2
	v_cndmask_b32_e64 v2, 0, 1, vcc
	v_lshrrev_b32_e32 v6, 8, v3
	v_bfe_u32 v7, v3, 20, 11
	v_and_or_b32 v2, v6, s7, v2
	v_sub_u32_e32 v8, 0x3f1, v7
	v_or_b32_e32 v6, 0x1000, v2
	v_med3_i32 v8, v8, 0, 13
	v_lshrrev_b32_e32 v9, v8, v6
	v_lshlrev_b32_e32 v8, v8, v9
	v_cmp_ne_u32_e32 vcc, v8, v6
	v_cndmask_b32_e64 v6, 0, 1, vcc
	v_add_u32_e32 v7, 0xfffffc10, v7
	v_or_b32_e32 v6, v9, v6
	v_lshl_or_b32 v8, v7, 12, v2
	v_cmp_gt_i32_e32 vcc, 1, v7
	v_cndmask_b32_e32 v6, v8, v6, vcc
	v_and_b32_e32 v8, 7, v6
	v_cmp_lt_i32_e32 vcc, 5, v8
	v_cmp_eq_u32_e64 s[0:1], 3, v8
	v_lshrrev_b32_e32 v6, 2, v6
	s_or_b64 vcc, s[0:1], vcc
	v_addc_co_u32_e32 v6, vcc, 0, v6, vcc
	v_cmp_gt_i32_e32 vcc, 31, v7
	v_cndmask_b32_e32 v6, v0, v6, vcc
	v_cmp_ne_u32_e32 vcc, 0, v2
	v_cndmask_b32_e64 v2, 0, 1, vcc
	v_lshl_or_b32 v2, v2, 9, v0
	v_cmp_eq_u32_e32 vcc, s10, v7
	v_cndmask_b32_e32 v2, v6, v2, vcc
	v_lshrrev_b32_e32 v3, 16, v3
	v_and_or_b32 v6, v3, s11, v2
	ds_read2_b32 v[2:3], v28 offset0:34 offset1:51
	v_and_b32_e32 v1, 0xffff, v1
	v_lshl_or_b32 v1, v6, 16, v1
	v_mad_u64_u32 v[4:5], s[0:1], s8, v17, v[4:5]
	s_waitcnt lgkmcnt(0)
	v_lshrrev_b32_e32 v8, 16, v2
	v_mul_f16_sdwa v6, v43, v8 dst_sel:DWORD dst_unused:UNUSED_PAD src0_sel:WORD_1 src1_sel:DWORD
	v_fma_f16 v6, v43, v2, v6
	v_cvt_f32_f16_e32 v6, v6
	s_mul_i32 s4, s9, 0x44
	v_add_u32_e32 v5, s4, v5
	global_store_dword v[4:5], v1, off
	v_cvt_f64_f32_e32 v[6:7], v6
	v_mul_f64 v[6:7], v[6:7], s[2:3]
	v_and_or_b32 v1, v7, s6, v6
	v_cmp_ne_u32_e32 vcc, 0, v1
	v_cndmask_b32_e64 v1, 0, 1, vcc
	v_lshrrev_b32_e32 v6, 8, v7
	v_bfe_u32 v9, v7, 20, 11
	v_and_or_b32 v1, v6, s7, v1
	v_sub_u32_e32 v10, 0x3f1, v9
	v_or_b32_e32 v6, 0x1000, v1
	v_med3_i32 v10, v10, 0, 13
	v_lshrrev_b32_e32 v11, v10, v6
	v_lshlrev_b32_e32 v10, v10, v11
	v_cmp_ne_u32_e32 vcc, v10, v6
	v_cndmask_b32_e64 v6, 0, 1, vcc
	v_add_u32_e32 v9, 0xfffffc10, v9
	v_or_b32_e32 v6, v11, v6
	v_lshl_or_b32 v10, v9, 12, v1
	v_cmp_gt_i32_e32 vcc, 1, v9
	v_cndmask_b32_e32 v6, v10, v6, vcc
	v_and_b32_e32 v10, 7, v6
	v_cmp_lt_i32_e32 vcc, 5, v10
	v_cmp_eq_u32_e64 s[0:1], 3, v10
	v_lshrrev_b32_e32 v6, 2, v6
	s_or_b64 vcc, s[0:1], vcc
	v_addc_co_u32_e32 v6, vcc, 0, v6, vcc
	v_mul_f16_sdwa v2, v43, v2 dst_sel:DWORD dst_unused:UNUSED_PAD src0_sel:WORD_1 src1_sel:DWORD
	v_cmp_gt_i32_e32 vcc, 31, v9
	v_fma_f16 v2, v43, v8, -v2
	v_cndmask_b32_e32 v6, v0, v6, vcc
	v_cmp_ne_u32_e32 vcc, 0, v1
	v_cvt_f32_f16_e32 v2, v2
	v_cndmask_b32_e64 v1, 0, 1, vcc
	v_lshl_or_b32 v1, v1, 9, v0
	v_cmp_eq_u32_e32 vcc, s10, v9
	v_cndmask_b32_e32 v1, v6, v1, vcc
	v_lshrrev_b32_e32 v6, 16, v7
	v_and_or_b32 v1, v6, s11, v1
	v_cvt_f64_f32_e32 v[6:7], v2
	v_mul_f64 v[6:7], v[6:7], s[2:3]
	v_and_or_b32 v2, v7, s6, v6
	v_cmp_ne_u32_e32 vcc, 0, v2
	v_cndmask_b32_e64 v2, 0, 1, vcc
	v_lshrrev_b32_e32 v6, 8, v7
	v_bfe_u32 v8, v7, 20, 11
	v_and_or_b32 v2, v6, s7, v2
	v_sub_u32_e32 v9, 0x3f1, v8
	v_or_b32_e32 v6, 0x1000, v2
	v_med3_i32 v9, v9, 0, 13
	v_lshrrev_b32_e32 v10, v9, v6
	v_lshlrev_b32_e32 v9, v9, v10
	v_cmp_ne_u32_e32 vcc, v9, v6
	v_cndmask_b32_e64 v6, 0, 1, vcc
	v_add_u32_e32 v8, 0xfffffc10, v8
	v_or_b32_e32 v6, v10, v6
	v_lshl_or_b32 v9, v8, 12, v2
	v_cmp_gt_i32_e32 vcc, 1, v8
	v_cndmask_b32_e32 v6, v9, v6, vcc
	v_and_b32_e32 v9, 7, v6
	v_cmp_lt_i32_e32 vcc, 5, v9
	v_cmp_eq_u32_e64 s[0:1], 3, v9
	v_lshrrev_b32_e32 v6, 2, v6
	s_or_b64 vcc, s[0:1], vcc
	v_addc_co_u32_e32 v6, vcc, 0, v6, vcc
	v_cmp_gt_i32_e32 vcc, 31, v8
	v_cndmask_b32_e32 v6, v0, v6, vcc
	v_cmp_ne_u32_e32 vcc, 0, v2
	v_cndmask_b32_e64 v2, 0, 1, vcc
	v_lshl_or_b32 v2, v2, 9, v0
	v_cmp_eq_u32_e32 vcc, s10, v8
	v_cndmask_b32_e32 v2, v6, v2, vcc
	v_lshrrev_b32_e32 v6, 16, v7
	v_and_or_b32 v2, v6, s11, v2
	v_and_b32_e32 v1, 0xffff, v1
	v_lshl_or_b32 v1, v2, 16, v1
	v_lshrrev_b32_e32 v2, 16, v3
	v_mul_f16_sdwa v6, v42, v2 dst_sel:DWORD dst_unused:UNUSED_PAD src0_sel:WORD_1 src1_sel:DWORD
	v_fma_f16 v6, v42, v3, v6
	v_cvt_f32_f16_e32 v6, v6
	v_mad_u64_u32 v[4:5], s[0:1], s8, v17, v[4:5]
	v_add_u32_e32 v5, s4, v5
	v_cvt_f64_f32_e32 v[6:7], v6
	v_mul_f64 v[6:7], v[6:7], s[2:3]
	global_store_dword v[4:5], v1, off
	v_and_or_b32 v1, v7, s6, v6
	v_cmp_ne_u32_e32 vcc, 0, v1
	v_cndmask_b32_e64 v1, 0, 1, vcc
	v_lshrrev_b32_e32 v6, 8, v7
	v_bfe_u32 v8, v7, 20, 11
	v_and_or_b32 v1, v6, s7, v1
	v_sub_u32_e32 v9, 0x3f1, v8
	v_or_b32_e32 v6, 0x1000, v1
	v_med3_i32 v9, v9, 0, 13
	v_lshrrev_b32_e32 v10, v9, v6
	v_lshlrev_b32_e32 v9, v9, v10
	v_cmp_ne_u32_e32 vcc, v9, v6
	v_cndmask_b32_e64 v6, 0, 1, vcc
	v_add_u32_e32 v8, 0xfffffc10, v8
	v_or_b32_e32 v6, v10, v6
	v_lshl_or_b32 v9, v8, 12, v1
	v_cmp_gt_i32_e32 vcc, 1, v8
	v_cndmask_b32_e32 v6, v9, v6, vcc
	v_and_b32_e32 v9, 7, v6
	v_cmp_lt_i32_e32 vcc, 5, v9
	v_cmp_eq_u32_e64 s[0:1], 3, v9
	v_lshrrev_b32_e32 v6, 2, v6
	s_or_b64 vcc, s[0:1], vcc
	v_addc_co_u32_e32 v6, vcc, 0, v6, vcc
	v_mul_f16_sdwa v3, v42, v3 dst_sel:DWORD dst_unused:UNUSED_PAD src0_sel:WORD_1 src1_sel:DWORD
	v_cmp_gt_i32_e32 vcc, 31, v8
	v_fma_f16 v2, v42, v2, -v3
	v_cndmask_b32_e32 v6, v0, v6, vcc
	v_cmp_ne_u32_e32 vcc, 0, v1
	v_cvt_f32_f16_e32 v2, v2
	v_cndmask_b32_e64 v1, 0, 1, vcc
	v_lshl_or_b32 v1, v1, 9, v0
	v_cmp_eq_u32_e32 vcc, s10, v8
	v_cndmask_b32_e32 v1, v6, v1, vcc
	v_lshrrev_b32_e32 v3, 16, v7
	v_and_or_b32 v1, v3, s11, v1
	v_cvt_f64_f32_e32 v[2:3], v2
	v_mul_f64 v[2:3], v[2:3], s[2:3]
	v_and_or_b32 v2, v3, s6, v2
	v_cmp_ne_u32_e32 vcc, 0, v2
	v_cndmask_b32_e64 v2, 0, 1, vcc
	v_lshrrev_b32_e32 v6, 8, v3
	v_bfe_u32 v7, v3, 20, 11
	v_and_or_b32 v2, v6, s7, v2
	v_sub_u32_e32 v8, 0x3f1, v7
	v_or_b32_e32 v6, 0x1000, v2
	v_med3_i32 v8, v8, 0, 13
	v_lshrrev_b32_e32 v9, v8, v6
	v_lshlrev_b32_e32 v8, v8, v9
	v_cmp_ne_u32_e32 vcc, v8, v6
	v_cndmask_b32_e64 v6, 0, 1, vcc
	v_add_u32_e32 v7, 0xfffffc10, v7
	v_or_b32_e32 v6, v9, v6
	v_lshl_or_b32 v8, v7, 12, v2
	v_cmp_gt_i32_e32 vcc, 1, v7
	v_cndmask_b32_e32 v6, v8, v6, vcc
	v_and_b32_e32 v8, 7, v6
	v_cmp_lt_i32_e32 vcc, 5, v8
	v_cmp_eq_u32_e64 s[0:1], 3, v8
	v_lshrrev_b32_e32 v6, 2, v6
	s_or_b64 vcc, s[0:1], vcc
	v_addc_co_u32_e32 v6, vcc, 0, v6, vcc
	v_cmp_gt_i32_e32 vcc, 31, v7
	v_cndmask_b32_e32 v6, v0, v6, vcc
	v_cmp_ne_u32_e32 vcc, 0, v2
	v_cndmask_b32_e64 v2, 0, 1, vcc
	v_lshl_or_b32 v2, v2, 9, v0
	v_cmp_eq_u32_e32 vcc, s10, v7
	v_cndmask_b32_e32 v2, v6, v2, vcc
	ds_read2_b32 v[6:7], v28 offset0:68 offset1:85
	v_lshrrev_b32_e32 v3, 16, v3
	v_and_or_b32 v2, v3, s11, v2
	v_and_b32_e32 v1, 0xffff, v1
	v_lshl_or_b32 v1, v2, 16, v1
	s_waitcnt lgkmcnt(0)
	v_lshrrev_b32_e32 v8, 16, v6
	v_mul_f16_sdwa v2, v41, v8 dst_sel:DWORD dst_unused:UNUSED_PAD src0_sel:WORD_1 src1_sel:DWORD
	v_fma_f16 v2, v41, v6, v2
	v_cvt_f32_f16_e32 v9, v2
	v_mad_u64_u32 v[2:3], s[0:1], s8, v17, v[4:5]
	v_add_u32_e32 v3, s4, v3
	v_cvt_f64_f32_e32 v[4:5], v9
	v_mul_f64 v[4:5], v[4:5], s[2:3]
	global_store_dword v[2:3], v1, off
	v_and_or_b32 v1, v5, s6, v4
	v_cmp_ne_u32_e32 vcc, 0, v1
	v_cndmask_b32_e64 v1, 0, 1, vcc
	v_lshrrev_b32_e32 v4, 8, v5
	v_bfe_u32 v9, v5, 20, 11
	v_and_or_b32 v1, v4, s7, v1
	v_sub_u32_e32 v10, 0x3f1, v9
	v_or_b32_e32 v4, 0x1000, v1
	v_med3_i32 v10, v10, 0, 13
	v_lshrrev_b32_e32 v11, v10, v4
	v_lshlrev_b32_e32 v10, v10, v11
	v_cmp_ne_u32_e32 vcc, v10, v4
	v_cndmask_b32_e64 v4, 0, 1, vcc
	v_add_u32_e32 v9, 0xfffffc10, v9
	v_or_b32_e32 v4, v11, v4
	v_lshl_or_b32 v10, v9, 12, v1
	v_cmp_gt_i32_e32 vcc, 1, v9
	v_cndmask_b32_e32 v4, v10, v4, vcc
	v_and_b32_e32 v10, 7, v4
	v_cmp_lt_i32_e32 vcc, 5, v10
	v_cmp_eq_u32_e64 s[0:1], 3, v10
	v_lshrrev_b32_e32 v4, 2, v4
	s_or_b64 vcc, s[0:1], vcc
	v_addc_co_u32_e32 v4, vcc, 0, v4, vcc
	v_mul_f16_sdwa v6, v41, v6 dst_sel:DWORD dst_unused:UNUSED_PAD src0_sel:WORD_1 src1_sel:DWORD
	v_cmp_gt_i32_e32 vcc, 31, v9
	v_fma_f16 v6, v41, v8, -v6
	v_cndmask_b32_e32 v4, v0, v4, vcc
	v_cmp_ne_u32_e32 vcc, 0, v1
	v_cvt_f32_f16_e32 v6, v6
	v_cndmask_b32_e64 v1, 0, 1, vcc
	v_lshl_or_b32 v1, v1, 9, v0
	v_cmp_eq_u32_e32 vcc, s10, v9
	v_cndmask_b32_e32 v1, v4, v1, vcc
	v_lshrrev_b32_e32 v4, 16, v5
	v_and_or_b32 v1, v4, s11, v1
	v_cvt_f64_f32_e32 v[4:5], v6
	v_mul_f64 v[4:5], v[4:5], s[2:3]
	v_and_or_b32 v4, v5, s6, v4
	v_cmp_ne_u32_e32 vcc, 0, v4
	v_cndmask_b32_e64 v4, 0, 1, vcc
	v_lshrrev_b32_e32 v6, 8, v5
	v_bfe_u32 v8, v5, 20, 11
	v_and_or_b32 v4, v6, s7, v4
	v_sub_u32_e32 v9, 0x3f1, v8
	v_or_b32_e32 v6, 0x1000, v4
	v_med3_i32 v9, v9, 0, 13
	v_lshrrev_b32_e32 v10, v9, v6
	v_lshlrev_b32_e32 v9, v9, v10
	v_cmp_ne_u32_e32 vcc, v9, v6
	v_cndmask_b32_e64 v6, 0, 1, vcc
	v_add_u32_e32 v8, 0xfffffc10, v8
	v_or_b32_e32 v6, v10, v6
	v_lshl_or_b32 v9, v8, 12, v4
	v_cmp_gt_i32_e32 vcc, 1, v8
	v_cndmask_b32_e32 v6, v9, v6, vcc
	v_and_b32_e32 v9, 7, v6
	v_cmp_lt_i32_e32 vcc, 5, v9
	v_cmp_eq_u32_e64 s[0:1], 3, v9
	v_lshrrev_b32_e32 v6, 2, v6
	s_or_b64 vcc, s[0:1], vcc
	v_addc_co_u32_e32 v6, vcc, 0, v6, vcc
	v_cmp_gt_i32_e32 vcc, 31, v8
	v_cndmask_b32_e32 v6, v0, v6, vcc
	v_cmp_ne_u32_e32 vcc, 0, v4
	v_cndmask_b32_e64 v4, 0, 1, vcc
	v_lshl_or_b32 v4, v4, 9, v0
	v_cmp_eq_u32_e32 vcc, s10, v8
	v_cndmask_b32_e32 v4, v6, v4, vcc
	v_lshrrev_b32_e32 v5, 16, v5
	v_and_or_b32 v4, v5, s11, v4
	v_and_b32_e32 v1, 0xffff, v1
	v_lshrrev_b32_e32 v6, 16, v7
	v_lshl_or_b32 v1, v4, 16, v1
	v_mul_f16_sdwa v4, v40, v6 dst_sel:DWORD dst_unused:UNUSED_PAD src0_sel:WORD_1 src1_sel:DWORD
	v_fma_f16 v4, v40, v7, v4
	v_cvt_f32_f16_e32 v4, v4
	v_mad_u64_u32 v[2:3], s[0:1], s8, v17, v[2:3]
	v_add_u32_e32 v3, s4, v3
	v_cvt_f64_f32_e32 v[4:5], v4
	v_mul_f64 v[4:5], v[4:5], s[2:3]
	global_store_dword v[2:3], v1, off
	v_and_or_b32 v1, v5, s6, v4
	v_cmp_ne_u32_e32 vcc, 0, v1
	v_cndmask_b32_e64 v1, 0, 1, vcc
	v_lshrrev_b32_e32 v4, 8, v5
	v_bfe_u32 v8, v5, 20, 11
	v_and_or_b32 v1, v4, s7, v1
	v_sub_u32_e32 v9, 0x3f1, v8
	v_or_b32_e32 v4, 0x1000, v1
	v_med3_i32 v9, v9, 0, 13
	v_lshrrev_b32_e32 v10, v9, v4
	v_lshlrev_b32_e32 v9, v9, v10
	v_cmp_ne_u32_e32 vcc, v9, v4
	v_cndmask_b32_e64 v4, 0, 1, vcc
	v_add_u32_e32 v8, 0xfffffc10, v8
	v_or_b32_e32 v4, v10, v4
	v_lshl_or_b32 v9, v8, 12, v1
	v_cmp_gt_i32_e32 vcc, 1, v8
	v_cndmask_b32_e32 v4, v9, v4, vcc
	v_and_b32_e32 v9, 7, v4
	v_cmp_lt_i32_e32 vcc, 5, v9
	v_cmp_eq_u32_e64 s[0:1], 3, v9
	v_lshrrev_b32_e32 v4, 2, v4
	s_or_b64 vcc, s[0:1], vcc
	v_addc_co_u32_e32 v4, vcc, 0, v4, vcc
	v_mul_f16_sdwa v7, v40, v7 dst_sel:DWORD dst_unused:UNUSED_PAD src0_sel:WORD_1 src1_sel:DWORD
	v_cmp_gt_i32_e32 vcc, 31, v8
	v_fma_f16 v6, v40, v6, -v7
	v_cndmask_b32_e32 v4, v0, v4, vcc
	v_cmp_ne_u32_e32 vcc, 0, v1
	v_cvt_f32_f16_e32 v6, v6
	v_cndmask_b32_e64 v1, 0, 1, vcc
	v_lshl_or_b32 v1, v1, 9, v0
	v_cmp_eq_u32_e32 vcc, s10, v8
	v_cndmask_b32_e32 v1, v4, v1, vcc
	v_lshrrev_b32_e32 v4, 16, v5
	v_and_or_b32 v1, v4, s11, v1
	v_cvt_f64_f32_e32 v[4:5], v6
	v_mul_f64 v[4:5], v[4:5], s[2:3]
	v_and_or_b32 v4, v5, s6, v4
	v_cmp_ne_u32_e32 vcc, 0, v4
	v_cndmask_b32_e64 v4, 0, 1, vcc
	v_lshrrev_b32_e32 v6, 8, v5
	v_bfe_u32 v7, v5, 20, 11
	v_and_or_b32 v4, v6, s7, v4
	v_sub_u32_e32 v8, 0x3f1, v7
	v_or_b32_e32 v6, 0x1000, v4
	v_med3_i32 v8, v8, 0, 13
	v_lshrrev_b32_e32 v9, v8, v6
	v_lshlrev_b32_e32 v8, v8, v9
	v_cmp_ne_u32_e32 vcc, v8, v6
	v_cndmask_b32_e64 v6, 0, 1, vcc
	v_add_u32_e32 v7, 0xfffffc10, v7
	v_or_b32_e32 v6, v9, v6
	v_lshl_or_b32 v8, v7, 12, v4
	v_cmp_gt_i32_e32 vcc, 1, v7
	v_cndmask_b32_e32 v6, v8, v6, vcc
	v_and_b32_e32 v8, 7, v6
	v_cmp_lt_i32_e32 vcc, 5, v8
	v_cmp_eq_u32_e64 s[0:1], 3, v8
	v_lshrrev_b32_e32 v6, 2, v6
	s_or_b64 vcc, s[0:1], vcc
	v_addc_co_u32_e32 v6, vcc, 0, v6, vcc
	v_cmp_gt_i32_e32 vcc, 31, v7
	v_cndmask_b32_e32 v6, v0, v6, vcc
	v_cmp_ne_u32_e32 vcc, 0, v4
	v_cndmask_b32_e64 v4, 0, 1, vcc
	v_lshl_or_b32 v4, v4, 9, v0
	v_cmp_eq_u32_e32 vcc, s10, v7
	v_cndmask_b32_e32 v4, v6, v4, vcc
	ds_read2_b32 v[6:7], v28 offset0:102 offset1:119
	v_lshrrev_b32_e32 v5, 16, v5
	v_and_or_b32 v4, v5, s11, v4
	v_and_b32_e32 v1, 0xffff, v1
	v_lshl_or_b32 v1, v4, 16, v1
	s_waitcnt lgkmcnt(0)
	v_lshrrev_b32_e32 v8, 16, v6
	v_mul_f16_sdwa v4, v39, v8 dst_sel:DWORD dst_unused:UNUSED_PAD src0_sel:WORD_1 src1_sel:DWORD
	v_fma_f16 v4, v39, v6, v4
	v_cvt_f32_f16_e32 v4, v4
	v_mad_u64_u32 v[2:3], s[0:1], s8, v17, v[2:3]
	v_add_u32_e32 v3, s4, v3
	v_cvt_f64_f32_e32 v[4:5], v4
	v_mul_f64 v[4:5], v[4:5], s[2:3]
	global_store_dword v[2:3], v1, off
	v_and_or_b32 v1, v5, s6, v4
	v_cmp_ne_u32_e32 vcc, 0, v1
	v_cndmask_b32_e64 v1, 0, 1, vcc
	v_lshrrev_b32_e32 v4, 8, v5
	v_bfe_u32 v9, v5, 20, 11
	v_and_or_b32 v1, v4, s7, v1
	v_sub_u32_e32 v10, 0x3f1, v9
	v_or_b32_e32 v4, 0x1000, v1
	v_med3_i32 v10, v10, 0, 13
	v_lshrrev_b32_e32 v11, v10, v4
	v_lshlrev_b32_e32 v10, v10, v11
	v_cmp_ne_u32_e32 vcc, v10, v4
	v_cndmask_b32_e64 v4, 0, 1, vcc
	v_add_u32_e32 v9, 0xfffffc10, v9
	v_or_b32_e32 v4, v11, v4
	v_lshl_or_b32 v10, v9, 12, v1
	v_cmp_gt_i32_e32 vcc, 1, v9
	v_cndmask_b32_e32 v4, v10, v4, vcc
	v_and_b32_e32 v10, 7, v4
	v_cmp_lt_i32_e32 vcc, 5, v10
	v_cmp_eq_u32_e64 s[0:1], 3, v10
	v_lshrrev_b32_e32 v4, 2, v4
	s_or_b64 vcc, s[0:1], vcc
	v_addc_co_u32_e32 v4, vcc, 0, v4, vcc
	v_mul_f16_sdwa v6, v39, v6 dst_sel:DWORD dst_unused:UNUSED_PAD src0_sel:WORD_1 src1_sel:DWORD
	v_cmp_gt_i32_e32 vcc, 31, v9
	v_fma_f16 v6, v39, v8, -v6
	v_cndmask_b32_e32 v4, v0, v4, vcc
	v_cmp_ne_u32_e32 vcc, 0, v1
	v_cvt_f32_f16_e32 v6, v6
	v_cndmask_b32_e64 v1, 0, 1, vcc
	v_lshl_or_b32 v1, v1, 9, v0
	v_cmp_eq_u32_e32 vcc, s10, v9
	v_cndmask_b32_e32 v1, v4, v1, vcc
	v_lshrrev_b32_e32 v4, 16, v5
	v_and_or_b32 v1, v4, s11, v1
	v_cvt_f64_f32_e32 v[4:5], v6
	v_mul_f64 v[4:5], v[4:5], s[2:3]
	v_and_or_b32 v4, v5, s6, v4
	v_cmp_ne_u32_e32 vcc, 0, v4
	v_cndmask_b32_e64 v4, 0, 1, vcc
	v_lshrrev_b32_e32 v6, 8, v5
	v_bfe_u32 v8, v5, 20, 11
	v_and_or_b32 v4, v6, s7, v4
	v_sub_u32_e32 v9, 0x3f1, v8
	v_or_b32_e32 v6, 0x1000, v4
	v_med3_i32 v9, v9, 0, 13
	v_lshrrev_b32_e32 v10, v9, v6
	v_lshlrev_b32_e32 v9, v9, v10
	v_cmp_ne_u32_e32 vcc, v9, v6
	v_cndmask_b32_e64 v6, 0, 1, vcc
	v_add_u32_e32 v8, 0xfffffc10, v8
	v_or_b32_e32 v6, v10, v6
	v_lshl_or_b32 v9, v8, 12, v4
	v_cmp_gt_i32_e32 vcc, 1, v8
	v_cndmask_b32_e32 v6, v9, v6, vcc
	v_and_b32_e32 v9, 7, v6
	v_cmp_lt_i32_e32 vcc, 5, v9
	v_cmp_eq_u32_e64 s[0:1], 3, v9
	v_lshrrev_b32_e32 v6, 2, v6
	s_or_b64 vcc, s[0:1], vcc
	v_addc_co_u32_e32 v6, vcc, 0, v6, vcc
	v_cmp_gt_i32_e32 vcc, 31, v8
	v_cndmask_b32_e32 v6, v0, v6, vcc
	v_cmp_ne_u32_e32 vcc, 0, v4
	v_cndmask_b32_e64 v4, 0, 1, vcc
	v_lshl_or_b32 v4, v4, 9, v0
	v_cmp_eq_u32_e32 vcc, s10, v8
	v_cndmask_b32_e32 v4, v6, v4, vcc
	v_lshrrev_b32_e32 v5, 16, v5
	v_and_or_b32 v4, v5, s11, v4
	v_and_b32_e32 v1, 0xffff, v1
	v_lshrrev_b32_e32 v6, 16, v7
	v_lshl_or_b32 v1, v4, 16, v1
	v_mul_f16_sdwa v4, v38, v6 dst_sel:DWORD dst_unused:UNUSED_PAD src0_sel:WORD_1 src1_sel:DWORD
	v_fma_f16 v4, v38, v7, v4
	v_cvt_f32_f16_e32 v4, v4
	v_mad_u64_u32 v[2:3], s[0:1], s8, v17, v[2:3]
	v_add_u32_e32 v3, s4, v3
	v_cvt_f64_f32_e32 v[4:5], v4
	v_mul_f64 v[4:5], v[4:5], s[2:3]
	global_store_dword v[2:3], v1, off
	v_and_or_b32 v1, v5, s6, v4
	v_cmp_ne_u32_e32 vcc, 0, v1
	v_cndmask_b32_e64 v1, 0, 1, vcc
	v_lshrrev_b32_e32 v4, 8, v5
	v_bfe_u32 v8, v5, 20, 11
	v_and_or_b32 v1, v4, s7, v1
	v_sub_u32_e32 v9, 0x3f1, v8
	v_or_b32_e32 v4, 0x1000, v1
	v_med3_i32 v9, v9, 0, 13
	v_lshrrev_b32_e32 v10, v9, v4
	v_lshlrev_b32_e32 v9, v9, v10
	v_cmp_ne_u32_e32 vcc, v9, v4
	v_cndmask_b32_e64 v4, 0, 1, vcc
	v_add_u32_e32 v8, 0xfffffc10, v8
	v_or_b32_e32 v4, v10, v4
	v_lshl_or_b32 v9, v8, 12, v1
	v_cmp_gt_i32_e32 vcc, 1, v8
	v_cndmask_b32_e32 v4, v9, v4, vcc
	v_and_b32_e32 v9, 7, v4
	v_cmp_lt_i32_e32 vcc, 5, v9
	v_cmp_eq_u32_e64 s[0:1], 3, v9
	v_lshrrev_b32_e32 v4, 2, v4
	s_or_b64 vcc, s[0:1], vcc
	v_addc_co_u32_e32 v4, vcc, 0, v4, vcc
	v_mul_f16_sdwa v7, v38, v7 dst_sel:DWORD dst_unused:UNUSED_PAD src0_sel:WORD_1 src1_sel:DWORD
	v_cmp_gt_i32_e32 vcc, 31, v8
	v_fma_f16 v6, v38, v6, -v7
	v_cndmask_b32_e32 v4, v0, v4, vcc
	v_cmp_ne_u32_e32 vcc, 0, v1
	v_cvt_f32_f16_e32 v6, v6
	v_cndmask_b32_e64 v1, 0, 1, vcc
	v_lshl_or_b32 v1, v1, 9, v0
	v_cmp_eq_u32_e32 vcc, s10, v8
	v_cndmask_b32_e32 v1, v4, v1, vcc
	v_lshrrev_b32_e32 v4, 16, v5
	v_and_or_b32 v1, v4, s11, v1
	v_cvt_f64_f32_e32 v[4:5], v6
	v_mul_f64 v[4:5], v[4:5], s[2:3]
	v_and_or_b32 v4, v5, s6, v4
	v_cmp_ne_u32_e32 vcc, 0, v4
	v_cndmask_b32_e64 v4, 0, 1, vcc
	v_lshrrev_b32_e32 v6, 8, v5
	v_bfe_u32 v7, v5, 20, 11
	v_and_or_b32 v4, v6, s7, v4
	v_sub_u32_e32 v8, 0x3f1, v7
	v_or_b32_e32 v6, 0x1000, v4
	v_med3_i32 v8, v8, 0, 13
	v_lshrrev_b32_e32 v9, v8, v6
	v_lshlrev_b32_e32 v8, v8, v9
	v_cmp_ne_u32_e32 vcc, v8, v6
	v_cndmask_b32_e64 v6, 0, 1, vcc
	v_add_u32_e32 v7, 0xfffffc10, v7
	v_or_b32_e32 v6, v9, v6
	v_lshl_or_b32 v8, v7, 12, v4
	v_cmp_gt_i32_e32 vcc, 1, v7
	v_cndmask_b32_e32 v6, v8, v6, vcc
	v_and_b32_e32 v8, 7, v6
	v_cmp_lt_i32_e32 vcc, 5, v8
	v_cmp_eq_u32_e64 s[0:1], 3, v8
	v_lshrrev_b32_e32 v6, 2, v6
	s_or_b64 vcc, s[0:1], vcc
	v_addc_co_u32_e32 v6, vcc, 0, v6, vcc
	v_cmp_gt_i32_e32 vcc, 31, v7
	v_cndmask_b32_e32 v6, v0, v6, vcc
	v_cmp_ne_u32_e32 vcc, 0, v4
	v_cndmask_b32_e64 v4, 0, 1, vcc
	v_lshl_or_b32 v4, v4, 9, v0
	v_cmp_eq_u32_e32 vcc, s10, v7
	v_cndmask_b32_e32 v4, v6, v4, vcc
	ds_read2_b32 v[6:7], v28 offset0:136 offset1:153
	v_lshrrev_b32_e32 v5, 16, v5
	v_and_or_b32 v4, v5, s11, v4
	v_and_b32_e32 v1, 0xffff, v1
	v_lshl_or_b32 v1, v4, 16, v1
	s_waitcnt lgkmcnt(0)
	v_lshrrev_b32_e32 v8, 16, v6
	v_mul_f16_sdwa v4, v37, v8 dst_sel:DWORD dst_unused:UNUSED_PAD src0_sel:WORD_1 src1_sel:DWORD
	v_fma_f16 v4, v37, v6, v4
	v_cvt_f32_f16_e32 v4, v4
	v_mad_u64_u32 v[2:3], s[0:1], s8, v17, v[2:3]
	v_add_u32_e32 v3, s4, v3
	v_cvt_f64_f32_e32 v[4:5], v4
	v_mul_f64 v[4:5], v[4:5], s[2:3]
	global_store_dword v[2:3], v1, off
	v_and_or_b32 v1, v5, s6, v4
	v_cmp_ne_u32_e32 vcc, 0, v1
	v_cndmask_b32_e64 v1, 0, 1, vcc
	v_lshrrev_b32_e32 v4, 8, v5
	v_bfe_u32 v9, v5, 20, 11
	v_and_or_b32 v1, v4, s7, v1
	v_sub_u32_e32 v10, 0x3f1, v9
	v_or_b32_e32 v4, 0x1000, v1
	v_med3_i32 v10, v10, 0, 13
	v_lshrrev_b32_e32 v11, v10, v4
	v_lshlrev_b32_e32 v10, v10, v11
	v_cmp_ne_u32_e32 vcc, v10, v4
	v_cndmask_b32_e64 v4, 0, 1, vcc
	v_add_u32_e32 v9, 0xfffffc10, v9
	v_or_b32_e32 v4, v11, v4
	v_lshl_or_b32 v10, v9, 12, v1
	v_cmp_gt_i32_e32 vcc, 1, v9
	v_cndmask_b32_e32 v4, v10, v4, vcc
	v_and_b32_e32 v10, 7, v4
	v_cmp_lt_i32_e32 vcc, 5, v10
	v_cmp_eq_u32_e64 s[0:1], 3, v10
	v_lshrrev_b32_e32 v4, 2, v4
	s_or_b64 vcc, s[0:1], vcc
	v_addc_co_u32_e32 v4, vcc, 0, v4, vcc
	v_mul_f16_sdwa v6, v37, v6 dst_sel:DWORD dst_unused:UNUSED_PAD src0_sel:WORD_1 src1_sel:DWORD
	v_cmp_gt_i32_e32 vcc, 31, v9
	v_fma_f16 v6, v37, v8, -v6
	v_cndmask_b32_e32 v4, v0, v4, vcc
	v_cmp_ne_u32_e32 vcc, 0, v1
	v_cvt_f32_f16_e32 v6, v6
	v_cndmask_b32_e64 v1, 0, 1, vcc
	v_lshl_or_b32 v1, v1, 9, v0
	v_cmp_eq_u32_e32 vcc, s10, v9
	v_cndmask_b32_e32 v1, v4, v1, vcc
	v_lshrrev_b32_e32 v4, 16, v5
	v_and_or_b32 v1, v4, s11, v1
	v_cvt_f64_f32_e32 v[4:5], v6
	v_mul_f64 v[4:5], v[4:5], s[2:3]
	v_and_or_b32 v4, v5, s6, v4
	v_cmp_ne_u32_e32 vcc, 0, v4
	v_cndmask_b32_e64 v4, 0, 1, vcc
	v_lshrrev_b32_e32 v6, 8, v5
	v_bfe_u32 v8, v5, 20, 11
	v_and_or_b32 v4, v6, s7, v4
	v_sub_u32_e32 v9, 0x3f1, v8
	v_or_b32_e32 v6, 0x1000, v4
	v_med3_i32 v9, v9, 0, 13
	v_lshrrev_b32_e32 v10, v9, v6
	v_lshlrev_b32_e32 v9, v9, v10
	v_cmp_ne_u32_e32 vcc, v9, v6
	v_cndmask_b32_e64 v6, 0, 1, vcc
	v_add_u32_e32 v8, 0xfffffc10, v8
	v_or_b32_e32 v6, v10, v6
	v_lshl_or_b32 v9, v8, 12, v4
	v_cmp_gt_i32_e32 vcc, 1, v8
	v_cndmask_b32_e32 v6, v9, v6, vcc
	v_and_b32_e32 v9, 7, v6
	v_cmp_lt_i32_e32 vcc, 5, v9
	v_cmp_eq_u32_e64 s[0:1], 3, v9
	v_lshrrev_b32_e32 v6, 2, v6
	s_or_b64 vcc, s[0:1], vcc
	v_addc_co_u32_e32 v6, vcc, 0, v6, vcc
	v_cmp_gt_i32_e32 vcc, 31, v8
	v_cndmask_b32_e32 v6, v0, v6, vcc
	v_cmp_ne_u32_e32 vcc, 0, v4
	v_cndmask_b32_e64 v4, 0, 1, vcc
	v_lshl_or_b32 v4, v4, 9, v0
	v_cmp_eq_u32_e32 vcc, s10, v8
	v_cndmask_b32_e32 v4, v6, v4, vcc
	v_lshrrev_b32_e32 v5, 16, v5
	v_and_or_b32 v4, v5, s11, v4
	v_and_b32_e32 v1, 0xffff, v1
	v_lshrrev_b32_e32 v6, 16, v7
	v_lshl_or_b32 v1, v4, 16, v1
	v_mul_f16_sdwa v4, v36, v6 dst_sel:DWORD dst_unused:UNUSED_PAD src0_sel:WORD_1 src1_sel:DWORD
	v_fma_f16 v4, v36, v7, v4
	v_cvt_f32_f16_e32 v4, v4
	v_mad_u64_u32 v[2:3], s[0:1], s8, v17, v[2:3]
	v_add_u32_e32 v3, s4, v3
	v_cvt_f64_f32_e32 v[4:5], v4
	v_mul_f64 v[4:5], v[4:5], s[2:3]
	global_store_dword v[2:3], v1, off
	v_and_or_b32 v1, v5, s6, v4
	v_cmp_ne_u32_e32 vcc, 0, v1
	v_cndmask_b32_e64 v1, 0, 1, vcc
	v_lshrrev_b32_e32 v4, 8, v5
	v_bfe_u32 v8, v5, 20, 11
	v_and_or_b32 v1, v4, s7, v1
	v_sub_u32_e32 v9, 0x3f1, v8
	v_or_b32_e32 v4, 0x1000, v1
	v_med3_i32 v9, v9, 0, 13
	v_lshrrev_b32_e32 v10, v9, v4
	v_lshlrev_b32_e32 v9, v9, v10
	v_cmp_ne_u32_e32 vcc, v9, v4
	v_cndmask_b32_e64 v4, 0, 1, vcc
	v_add_u32_e32 v8, 0xfffffc10, v8
	v_or_b32_e32 v4, v10, v4
	v_lshl_or_b32 v9, v8, 12, v1
	v_cmp_gt_i32_e32 vcc, 1, v8
	v_cndmask_b32_e32 v4, v9, v4, vcc
	v_and_b32_e32 v9, 7, v4
	v_cmp_lt_i32_e32 vcc, 5, v9
	v_cmp_eq_u32_e64 s[0:1], 3, v9
	v_lshrrev_b32_e32 v4, 2, v4
	s_or_b64 vcc, s[0:1], vcc
	v_addc_co_u32_e32 v4, vcc, 0, v4, vcc
	v_mul_f16_sdwa v7, v36, v7 dst_sel:DWORD dst_unused:UNUSED_PAD src0_sel:WORD_1 src1_sel:DWORD
	v_cmp_gt_i32_e32 vcc, 31, v8
	v_fma_f16 v6, v36, v6, -v7
	v_cndmask_b32_e32 v4, v0, v4, vcc
	v_cmp_ne_u32_e32 vcc, 0, v1
	v_cvt_f32_f16_e32 v6, v6
	v_cndmask_b32_e64 v1, 0, 1, vcc
	v_lshl_or_b32 v1, v1, 9, v0
	v_cmp_eq_u32_e32 vcc, s10, v8
	v_cndmask_b32_e32 v1, v4, v1, vcc
	v_lshrrev_b32_e32 v4, 16, v5
	v_and_or_b32 v1, v4, s11, v1
	v_cvt_f64_f32_e32 v[4:5], v6
	v_mul_f64 v[4:5], v[4:5], s[2:3]
	v_and_or_b32 v4, v5, s6, v4
	v_cmp_ne_u32_e32 vcc, 0, v4
	v_cndmask_b32_e64 v4, 0, 1, vcc
	v_lshrrev_b32_e32 v6, 8, v5
	v_bfe_u32 v7, v5, 20, 11
	v_and_or_b32 v4, v6, s7, v4
	v_sub_u32_e32 v8, 0x3f1, v7
	v_or_b32_e32 v6, 0x1000, v4
	v_med3_i32 v8, v8, 0, 13
	v_lshrrev_b32_e32 v9, v8, v6
	v_lshlrev_b32_e32 v8, v8, v9
	v_cmp_ne_u32_e32 vcc, v8, v6
	v_cndmask_b32_e64 v6, 0, 1, vcc
	v_add_u32_e32 v7, 0xfffffc10, v7
	v_or_b32_e32 v6, v9, v6
	v_lshl_or_b32 v8, v7, 12, v4
	v_cmp_gt_i32_e32 vcc, 1, v7
	v_cndmask_b32_e32 v6, v8, v6, vcc
	v_and_b32_e32 v8, 7, v6
	v_cmp_lt_i32_e32 vcc, 5, v8
	v_cmp_eq_u32_e64 s[0:1], 3, v8
	v_lshrrev_b32_e32 v6, 2, v6
	s_or_b64 vcc, s[0:1], vcc
	v_addc_co_u32_e32 v6, vcc, 0, v6, vcc
	v_cmp_gt_i32_e32 vcc, 31, v7
	v_cndmask_b32_e32 v6, v0, v6, vcc
	v_cmp_ne_u32_e32 vcc, 0, v4
	v_cndmask_b32_e64 v4, 0, 1, vcc
	v_lshl_or_b32 v4, v4, 9, v0
	v_cmp_eq_u32_e32 vcc, s10, v7
	v_cndmask_b32_e32 v4, v6, v4, vcc
	ds_read2_b32 v[6:7], v28 offset0:170 offset1:187
	v_lshrrev_b32_e32 v5, 16, v5
	v_and_or_b32 v4, v5, s11, v4
	v_and_b32_e32 v1, 0xffff, v1
	v_lshl_or_b32 v1, v4, 16, v1
	s_waitcnt lgkmcnt(0)
	v_lshrrev_b32_e32 v8, 16, v6
	v_mul_f16_sdwa v4, v35, v8 dst_sel:DWORD dst_unused:UNUSED_PAD src0_sel:WORD_1 src1_sel:DWORD
	v_fma_f16 v4, v35, v6, v4
	v_cvt_f32_f16_e32 v4, v4
	v_mad_u64_u32 v[2:3], s[0:1], s8, v17, v[2:3]
	v_add_u32_e32 v3, s4, v3
	v_cvt_f64_f32_e32 v[4:5], v4
	v_mul_f64 v[4:5], v[4:5], s[2:3]
	global_store_dword v[2:3], v1, off
	v_and_or_b32 v1, v5, s6, v4
	v_cmp_ne_u32_e32 vcc, 0, v1
	v_cndmask_b32_e64 v1, 0, 1, vcc
	v_lshrrev_b32_e32 v4, 8, v5
	v_bfe_u32 v9, v5, 20, 11
	v_and_or_b32 v1, v4, s7, v1
	v_sub_u32_e32 v10, 0x3f1, v9
	v_or_b32_e32 v4, 0x1000, v1
	v_med3_i32 v10, v10, 0, 13
	v_lshrrev_b32_e32 v11, v10, v4
	v_lshlrev_b32_e32 v10, v10, v11
	v_cmp_ne_u32_e32 vcc, v10, v4
	v_cndmask_b32_e64 v4, 0, 1, vcc
	v_add_u32_e32 v9, 0xfffffc10, v9
	v_or_b32_e32 v4, v11, v4
	v_lshl_or_b32 v10, v9, 12, v1
	v_cmp_gt_i32_e32 vcc, 1, v9
	v_cndmask_b32_e32 v4, v10, v4, vcc
	v_and_b32_e32 v10, 7, v4
	v_cmp_lt_i32_e32 vcc, 5, v10
	v_cmp_eq_u32_e64 s[0:1], 3, v10
	v_lshrrev_b32_e32 v4, 2, v4
	s_or_b64 vcc, s[0:1], vcc
	v_addc_co_u32_e32 v4, vcc, 0, v4, vcc
	v_mul_f16_sdwa v6, v35, v6 dst_sel:DWORD dst_unused:UNUSED_PAD src0_sel:WORD_1 src1_sel:DWORD
	v_cmp_gt_i32_e32 vcc, 31, v9
	v_fma_f16 v6, v35, v8, -v6
	v_cndmask_b32_e32 v4, v0, v4, vcc
	v_cmp_ne_u32_e32 vcc, 0, v1
	v_cvt_f32_f16_e32 v6, v6
	v_cndmask_b32_e64 v1, 0, 1, vcc
	v_lshl_or_b32 v1, v1, 9, v0
	v_cmp_eq_u32_e32 vcc, s10, v9
	v_cndmask_b32_e32 v1, v4, v1, vcc
	v_lshrrev_b32_e32 v4, 16, v5
	v_and_or_b32 v1, v4, s11, v1
	v_cvt_f64_f32_e32 v[4:5], v6
	v_mul_f64 v[4:5], v[4:5], s[2:3]
	v_and_or_b32 v4, v5, s6, v4
	v_cmp_ne_u32_e32 vcc, 0, v4
	v_cndmask_b32_e64 v4, 0, 1, vcc
	v_lshrrev_b32_e32 v6, 8, v5
	v_bfe_u32 v8, v5, 20, 11
	v_and_or_b32 v4, v6, s7, v4
	v_sub_u32_e32 v9, 0x3f1, v8
	v_or_b32_e32 v6, 0x1000, v4
	v_med3_i32 v9, v9, 0, 13
	v_lshrrev_b32_e32 v10, v9, v6
	v_lshlrev_b32_e32 v9, v9, v10
	v_cmp_ne_u32_e32 vcc, v9, v6
	v_cndmask_b32_e64 v6, 0, 1, vcc
	v_add_u32_e32 v8, 0xfffffc10, v8
	v_or_b32_e32 v6, v10, v6
	v_lshl_or_b32 v9, v8, 12, v4
	v_cmp_gt_i32_e32 vcc, 1, v8
	v_cndmask_b32_e32 v6, v9, v6, vcc
	v_and_b32_e32 v9, 7, v6
	v_cmp_lt_i32_e32 vcc, 5, v9
	v_cmp_eq_u32_e64 s[0:1], 3, v9
	v_lshrrev_b32_e32 v6, 2, v6
	s_or_b64 vcc, s[0:1], vcc
	v_addc_co_u32_e32 v6, vcc, 0, v6, vcc
	v_cmp_gt_i32_e32 vcc, 31, v8
	v_cndmask_b32_e32 v6, v0, v6, vcc
	v_cmp_ne_u32_e32 vcc, 0, v4
	v_cndmask_b32_e64 v4, 0, 1, vcc
	v_lshl_or_b32 v4, v4, 9, v0
	v_cmp_eq_u32_e32 vcc, s10, v8
	v_cndmask_b32_e32 v4, v6, v4, vcc
	v_lshrrev_b32_e32 v5, 16, v5
	v_and_or_b32 v4, v5, s11, v4
	v_and_b32_e32 v1, 0xffff, v1
	v_lshrrev_b32_e32 v6, 16, v7
	v_lshl_or_b32 v1, v4, 16, v1
	v_mul_f16_sdwa v4, v34, v6 dst_sel:DWORD dst_unused:UNUSED_PAD src0_sel:WORD_1 src1_sel:DWORD
	v_fma_f16 v4, v34, v7, v4
	v_cvt_f32_f16_e32 v4, v4
	v_mad_u64_u32 v[2:3], s[0:1], s8, v17, v[2:3]
	v_add_u32_e32 v3, s4, v3
	v_cvt_f64_f32_e32 v[4:5], v4
	v_mul_f64 v[4:5], v[4:5], s[2:3]
	global_store_dword v[2:3], v1, off
	v_and_or_b32 v1, v5, s6, v4
	v_cmp_ne_u32_e32 vcc, 0, v1
	v_cndmask_b32_e64 v1, 0, 1, vcc
	v_lshrrev_b32_e32 v4, 8, v5
	v_bfe_u32 v8, v5, 20, 11
	v_and_or_b32 v1, v4, s7, v1
	v_sub_u32_e32 v9, 0x3f1, v8
	v_or_b32_e32 v4, 0x1000, v1
	v_med3_i32 v9, v9, 0, 13
	v_lshrrev_b32_e32 v10, v9, v4
	v_lshlrev_b32_e32 v9, v9, v10
	v_cmp_ne_u32_e32 vcc, v9, v4
	v_cndmask_b32_e64 v4, 0, 1, vcc
	v_add_u32_e32 v8, 0xfffffc10, v8
	v_or_b32_e32 v4, v10, v4
	v_lshl_or_b32 v9, v8, 12, v1
	v_cmp_gt_i32_e32 vcc, 1, v8
	v_cndmask_b32_e32 v4, v9, v4, vcc
	v_and_b32_e32 v9, 7, v4
	v_cmp_lt_i32_e32 vcc, 5, v9
	v_cmp_eq_u32_e64 s[0:1], 3, v9
	v_lshrrev_b32_e32 v4, 2, v4
	s_or_b64 vcc, s[0:1], vcc
	v_addc_co_u32_e32 v4, vcc, 0, v4, vcc
	v_mul_f16_sdwa v7, v34, v7 dst_sel:DWORD dst_unused:UNUSED_PAD src0_sel:WORD_1 src1_sel:DWORD
	v_cmp_gt_i32_e32 vcc, 31, v8
	v_fma_f16 v6, v34, v6, -v7
	v_cndmask_b32_e32 v4, v0, v4, vcc
	v_cmp_ne_u32_e32 vcc, 0, v1
	v_cvt_f32_f16_e32 v6, v6
	v_cndmask_b32_e64 v1, 0, 1, vcc
	v_lshl_or_b32 v1, v1, 9, v0
	v_cmp_eq_u32_e32 vcc, s10, v8
	v_cndmask_b32_e32 v1, v4, v1, vcc
	v_lshrrev_b32_e32 v4, 16, v5
	v_and_or_b32 v1, v4, s11, v1
	v_cvt_f64_f32_e32 v[4:5], v6
	v_mul_f64 v[4:5], v[4:5], s[2:3]
	v_and_or_b32 v4, v5, s6, v4
	v_cmp_ne_u32_e32 vcc, 0, v4
	v_cndmask_b32_e64 v4, 0, 1, vcc
	v_lshrrev_b32_e32 v6, 8, v5
	v_bfe_u32 v7, v5, 20, 11
	v_and_or_b32 v4, v6, s7, v4
	v_sub_u32_e32 v8, 0x3f1, v7
	v_or_b32_e32 v6, 0x1000, v4
	v_med3_i32 v8, v8, 0, 13
	v_lshrrev_b32_e32 v9, v8, v6
	v_lshlrev_b32_e32 v8, v8, v9
	v_cmp_ne_u32_e32 vcc, v8, v6
	v_cndmask_b32_e64 v6, 0, 1, vcc
	v_add_u32_e32 v7, 0xfffffc10, v7
	v_or_b32_e32 v6, v9, v6
	v_lshl_or_b32 v8, v7, 12, v4
	v_cmp_gt_i32_e32 vcc, 1, v7
	v_cndmask_b32_e32 v6, v8, v6, vcc
	v_and_b32_e32 v8, 7, v6
	v_cmp_lt_i32_e32 vcc, 5, v8
	v_cmp_eq_u32_e64 s[0:1], 3, v8
	v_lshrrev_b32_e32 v6, 2, v6
	s_or_b64 vcc, s[0:1], vcc
	v_addc_co_u32_e32 v6, vcc, 0, v6, vcc
	v_cmp_gt_i32_e32 vcc, 31, v7
	v_cndmask_b32_e32 v6, v0, v6, vcc
	v_cmp_ne_u32_e32 vcc, 0, v4
	v_cndmask_b32_e64 v4, 0, 1, vcc
	v_lshl_or_b32 v4, v4, 9, v0
	v_cmp_eq_u32_e32 vcc, s10, v7
	v_cndmask_b32_e32 v4, v6, v4, vcc
	ds_read2_b32 v[6:7], v28 offset0:204 offset1:221
	v_lshrrev_b32_e32 v5, 16, v5
	v_and_or_b32 v4, v5, s11, v4
	v_and_b32_e32 v1, 0xffff, v1
	v_lshl_or_b32 v1, v4, 16, v1
	s_waitcnt lgkmcnt(0)
	v_lshrrev_b32_e32 v8, 16, v6
	v_mul_f16_sdwa v4, v33, v8 dst_sel:DWORD dst_unused:UNUSED_PAD src0_sel:WORD_1 src1_sel:DWORD
	v_fma_f16 v4, v33, v6, v4
	v_cvt_f32_f16_e32 v4, v4
	v_mad_u64_u32 v[2:3], s[0:1], s8, v17, v[2:3]
	v_add_u32_e32 v3, s4, v3
	v_cvt_f64_f32_e32 v[4:5], v4
	v_mul_f64 v[4:5], v[4:5], s[2:3]
	global_store_dword v[2:3], v1, off
	v_and_or_b32 v1, v5, s6, v4
	v_cmp_ne_u32_e32 vcc, 0, v1
	v_cndmask_b32_e64 v1, 0, 1, vcc
	v_lshrrev_b32_e32 v4, 8, v5
	v_bfe_u32 v9, v5, 20, 11
	v_and_or_b32 v1, v4, s7, v1
	v_sub_u32_e32 v10, 0x3f1, v9
	v_or_b32_e32 v4, 0x1000, v1
	v_med3_i32 v10, v10, 0, 13
	v_lshrrev_b32_e32 v11, v10, v4
	v_lshlrev_b32_e32 v10, v10, v11
	v_cmp_ne_u32_e32 vcc, v10, v4
	v_cndmask_b32_e64 v4, 0, 1, vcc
	v_add_u32_e32 v9, 0xfffffc10, v9
	v_or_b32_e32 v4, v11, v4
	v_lshl_or_b32 v10, v9, 12, v1
	v_cmp_gt_i32_e32 vcc, 1, v9
	v_cndmask_b32_e32 v4, v10, v4, vcc
	v_and_b32_e32 v10, 7, v4
	v_cmp_lt_i32_e32 vcc, 5, v10
	v_cmp_eq_u32_e64 s[0:1], 3, v10
	v_lshrrev_b32_e32 v4, 2, v4
	s_or_b64 vcc, s[0:1], vcc
	v_addc_co_u32_e32 v4, vcc, 0, v4, vcc
	v_mul_f16_sdwa v6, v33, v6 dst_sel:DWORD dst_unused:UNUSED_PAD src0_sel:WORD_1 src1_sel:DWORD
	v_cmp_gt_i32_e32 vcc, 31, v9
	v_fma_f16 v6, v33, v8, -v6
	v_cndmask_b32_e32 v4, v0, v4, vcc
	v_cmp_ne_u32_e32 vcc, 0, v1
	v_cvt_f32_f16_e32 v6, v6
	v_cndmask_b32_e64 v1, 0, 1, vcc
	v_lshl_or_b32 v1, v1, 9, v0
	v_cmp_eq_u32_e32 vcc, s10, v9
	v_cndmask_b32_e32 v1, v4, v1, vcc
	v_lshrrev_b32_e32 v4, 16, v5
	v_and_or_b32 v1, v4, s11, v1
	v_cvt_f64_f32_e32 v[4:5], v6
	v_mul_f64 v[4:5], v[4:5], s[2:3]
	v_and_or_b32 v4, v5, s6, v4
	v_cmp_ne_u32_e32 vcc, 0, v4
	v_cndmask_b32_e64 v4, 0, 1, vcc
	v_lshrrev_b32_e32 v6, 8, v5
	v_bfe_u32 v8, v5, 20, 11
	v_and_or_b32 v4, v6, s7, v4
	v_sub_u32_e32 v9, 0x3f1, v8
	v_or_b32_e32 v6, 0x1000, v4
	v_med3_i32 v9, v9, 0, 13
	v_lshrrev_b32_e32 v10, v9, v6
	v_lshlrev_b32_e32 v9, v9, v10
	v_cmp_ne_u32_e32 vcc, v9, v6
	v_cndmask_b32_e64 v6, 0, 1, vcc
	v_add_u32_e32 v8, 0xfffffc10, v8
	v_or_b32_e32 v6, v10, v6
	v_lshl_or_b32 v9, v8, 12, v4
	v_cmp_gt_i32_e32 vcc, 1, v8
	v_cndmask_b32_e32 v6, v9, v6, vcc
	v_and_b32_e32 v9, 7, v6
	v_cmp_lt_i32_e32 vcc, 5, v9
	v_cmp_eq_u32_e64 s[0:1], 3, v9
	v_lshrrev_b32_e32 v6, 2, v6
	s_or_b64 vcc, s[0:1], vcc
	v_addc_co_u32_e32 v6, vcc, 0, v6, vcc
	v_cmp_gt_i32_e32 vcc, 31, v8
	v_cndmask_b32_e32 v6, v0, v6, vcc
	v_cmp_ne_u32_e32 vcc, 0, v4
	v_cndmask_b32_e64 v4, 0, 1, vcc
	v_lshl_or_b32 v4, v4, 9, v0
	v_cmp_eq_u32_e32 vcc, s10, v8
	v_cndmask_b32_e32 v4, v6, v4, vcc
	v_lshrrev_b32_e32 v5, 16, v5
	v_and_or_b32 v4, v5, s11, v4
	v_and_b32_e32 v1, 0xffff, v1
	v_lshrrev_b32_e32 v6, 16, v7
	v_lshl_or_b32 v1, v4, 16, v1
	v_mul_f16_sdwa v4, v32, v6 dst_sel:DWORD dst_unused:UNUSED_PAD src0_sel:WORD_1 src1_sel:DWORD
	v_fma_f16 v4, v32, v7, v4
	v_cvt_f32_f16_e32 v4, v4
	v_mad_u64_u32 v[2:3], s[0:1], s8, v17, v[2:3]
	v_add_u32_e32 v3, s4, v3
	v_cvt_f64_f32_e32 v[4:5], v4
	v_mul_f64 v[4:5], v[4:5], s[2:3]
	global_store_dword v[2:3], v1, off
	v_and_or_b32 v1, v5, s6, v4
	v_cmp_ne_u32_e32 vcc, 0, v1
	v_cndmask_b32_e64 v1, 0, 1, vcc
	v_lshrrev_b32_e32 v4, 8, v5
	v_bfe_u32 v8, v5, 20, 11
	v_and_or_b32 v1, v4, s7, v1
	v_sub_u32_e32 v9, 0x3f1, v8
	v_or_b32_e32 v4, 0x1000, v1
	v_med3_i32 v9, v9, 0, 13
	v_lshrrev_b32_e32 v10, v9, v4
	v_lshlrev_b32_e32 v9, v9, v10
	v_cmp_ne_u32_e32 vcc, v9, v4
	v_cndmask_b32_e64 v4, 0, 1, vcc
	v_add_u32_e32 v8, 0xfffffc10, v8
	v_or_b32_e32 v4, v10, v4
	v_lshl_or_b32 v9, v8, 12, v1
	v_cmp_gt_i32_e32 vcc, 1, v8
	v_cndmask_b32_e32 v4, v9, v4, vcc
	v_and_b32_e32 v9, 7, v4
	v_cmp_lt_i32_e32 vcc, 5, v9
	v_cmp_eq_u32_e64 s[0:1], 3, v9
	v_lshrrev_b32_e32 v4, 2, v4
	s_or_b64 vcc, s[0:1], vcc
	v_addc_co_u32_e32 v4, vcc, 0, v4, vcc
	v_mul_f16_sdwa v7, v32, v7 dst_sel:DWORD dst_unused:UNUSED_PAD src0_sel:WORD_1 src1_sel:DWORD
	v_cmp_gt_i32_e32 vcc, 31, v8
	v_fma_f16 v6, v32, v6, -v7
	v_cndmask_b32_e32 v4, v0, v4, vcc
	v_cmp_ne_u32_e32 vcc, 0, v1
	v_cvt_f32_f16_e32 v6, v6
	v_cndmask_b32_e64 v1, 0, 1, vcc
	v_lshl_or_b32 v1, v1, 9, v0
	v_cmp_eq_u32_e32 vcc, s10, v8
	v_cndmask_b32_e32 v1, v4, v1, vcc
	v_lshrrev_b32_e32 v4, 16, v5
	v_and_or_b32 v1, v4, s11, v1
	v_cvt_f64_f32_e32 v[4:5], v6
	v_mul_f64 v[4:5], v[4:5], s[2:3]
	v_and_or_b32 v4, v5, s6, v4
	v_cmp_ne_u32_e32 vcc, 0, v4
	v_cndmask_b32_e64 v4, 0, 1, vcc
	v_lshrrev_b32_e32 v6, 8, v5
	v_bfe_u32 v7, v5, 20, 11
	v_and_or_b32 v4, v6, s7, v4
	v_sub_u32_e32 v8, 0x3f1, v7
	v_or_b32_e32 v6, 0x1000, v4
	v_med3_i32 v8, v8, 0, 13
	v_lshrrev_b32_e32 v9, v8, v6
	v_lshlrev_b32_e32 v8, v8, v9
	v_cmp_ne_u32_e32 vcc, v8, v6
	v_cndmask_b32_e64 v6, 0, 1, vcc
	v_add_u32_e32 v7, 0xfffffc10, v7
	v_or_b32_e32 v6, v9, v6
	v_lshl_or_b32 v8, v7, 12, v4
	v_cmp_gt_i32_e32 vcc, 1, v7
	v_cndmask_b32_e32 v6, v8, v6, vcc
	v_and_b32_e32 v8, 7, v6
	v_cmp_lt_i32_e32 vcc, 5, v8
	v_cmp_eq_u32_e64 s[0:1], 3, v8
	v_lshrrev_b32_e32 v6, 2, v6
	s_or_b64 vcc, s[0:1], vcc
	v_addc_co_u32_e32 v6, vcc, 0, v6, vcc
	v_cmp_gt_i32_e32 vcc, 31, v7
	v_cndmask_b32_e32 v6, v0, v6, vcc
	v_cmp_ne_u32_e32 vcc, 0, v4
	v_cndmask_b32_e64 v4, 0, 1, vcc
	v_lshl_or_b32 v4, v4, 9, v0
	v_cmp_eq_u32_e32 vcc, s10, v7
	v_cndmask_b32_e32 v4, v6, v4, vcc
	ds_read2_b32 v[6:7], v28 offset0:238 offset1:255
	v_lshrrev_b32_e32 v5, 16, v5
	v_and_or_b32 v4, v5, s11, v4
	v_and_b32_e32 v1, 0xffff, v1
	v_lshl_or_b32 v1, v4, 16, v1
	s_waitcnt lgkmcnt(0)
	v_lshrrev_b32_e32 v8, 16, v6
	v_mul_f16_sdwa v4, v31, v8 dst_sel:DWORD dst_unused:UNUSED_PAD src0_sel:WORD_1 src1_sel:DWORD
	v_fma_f16 v4, v31, v6, v4
	v_cvt_f32_f16_e32 v4, v4
	v_mad_u64_u32 v[2:3], s[0:1], s8, v17, v[2:3]
	v_add_u32_e32 v3, s4, v3
	v_cvt_f64_f32_e32 v[4:5], v4
	v_mul_f64 v[4:5], v[4:5], s[2:3]
	global_store_dword v[2:3], v1, off
	v_and_or_b32 v1, v5, s6, v4
	v_cmp_ne_u32_e32 vcc, 0, v1
	v_cndmask_b32_e64 v1, 0, 1, vcc
	v_lshrrev_b32_e32 v4, 8, v5
	v_bfe_u32 v9, v5, 20, 11
	v_and_or_b32 v1, v4, s7, v1
	v_sub_u32_e32 v10, 0x3f1, v9
	v_or_b32_e32 v4, 0x1000, v1
	v_med3_i32 v10, v10, 0, 13
	v_lshrrev_b32_e32 v11, v10, v4
	v_lshlrev_b32_e32 v10, v10, v11
	v_cmp_ne_u32_e32 vcc, v10, v4
	v_cndmask_b32_e64 v4, 0, 1, vcc
	v_add_u32_e32 v9, 0xfffffc10, v9
	v_or_b32_e32 v4, v11, v4
	v_lshl_or_b32 v10, v9, 12, v1
	v_cmp_gt_i32_e32 vcc, 1, v9
	v_cndmask_b32_e32 v4, v10, v4, vcc
	v_and_b32_e32 v10, 7, v4
	v_cmp_lt_i32_e32 vcc, 5, v10
	v_cmp_eq_u32_e64 s[0:1], 3, v10
	v_lshrrev_b32_e32 v4, 2, v4
	s_or_b64 vcc, s[0:1], vcc
	v_addc_co_u32_e32 v4, vcc, 0, v4, vcc
	v_mul_f16_sdwa v6, v31, v6 dst_sel:DWORD dst_unused:UNUSED_PAD src0_sel:WORD_1 src1_sel:DWORD
	v_cmp_gt_i32_e32 vcc, 31, v9
	v_fma_f16 v6, v31, v8, -v6
	v_cndmask_b32_e32 v4, v0, v4, vcc
	v_cmp_ne_u32_e32 vcc, 0, v1
	v_cvt_f32_f16_e32 v6, v6
	v_cndmask_b32_e64 v1, 0, 1, vcc
	v_lshl_or_b32 v1, v1, 9, v0
	v_cmp_eq_u32_e32 vcc, s10, v9
	v_cndmask_b32_e32 v1, v4, v1, vcc
	v_lshrrev_b32_e32 v4, 16, v5
	v_and_or_b32 v1, v4, s11, v1
	v_cvt_f64_f32_e32 v[4:5], v6
	v_mul_f64 v[4:5], v[4:5], s[2:3]
	v_and_or_b32 v4, v5, s6, v4
	v_cmp_ne_u32_e32 vcc, 0, v4
	v_cndmask_b32_e64 v4, 0, 1, vcc
	v_lshrrev_b32_e32 v6, 8, v5
	v_bfe_u32 v8, v5, 20, 11
	v_and_or_b32 v4, v6, s7, v4
	v_sub_u32_e32 v9, 0x3f1, v8
	v_or_b32_e32 v6, 0x1000, v4
	v_med3_i32 v9, v9, 0, 13
	v_lshrrev_b32_e32 v10, v9, v6
	v_lshlrev_b32_e32 v9, v9, v10
	v_cmp_ne_u32_e32 vcc, v9, v6
	v_cndmask_b32_e64 v6, 0, 1, vcc
	v_add_u32_e32 v8, 0xfffffc10, v8
	v_or_b32_e32 v6, v10, v6
	v_lshl_or_b32 v9, v8, 12, v4
	v_cmp_gt_i32_e32 vcc, 1, v8
	v_cndmask_b32_e32 v6, v9, v6, vcc
	v_and_b32_e32 v9, 7, v6
	v_cmp_lt_i32_e32 vcc, 5, v9
	v_cmp_eq_u32_e64 s[0:1], 3, v9
	v_lshrrev_b32_e32 v6, 2, v6
	s_or_b64 vcc, s[0:1], vcc
	v_addc_co_u32_e32 v6, vcc, 0, v6, vcc
	v_cmp_gt_i32_e32 vcc, 31, v8
	v_cndmask_b32_e32 v6, v0, v6, vcc
	v_cmp_ne_u32_e32 vcc, 0, v4
	v_cndmask_b32_e64 v4, 0, 1, vcc
	v_lshl_or_b32 v4, v4, 9, v0
	v_cmp_eq_u32_e32 vcc, s10, v8
	v_cndmask_b32_e32 v4, v6, v4, vcc
	v_lshrrev_b32_e32 v5, 16, v5
	v_and_or_b32 v4, v5, s11, v4
	v_and_b32_e32 v1, 0xffff, v1
	v_lshrrev_b32_e32 v6, 16, v7
	v_lshl_or_b32 v1, v4, 16, v1
	v_mul_f16_sdwa v4, v30, v6 dst_sel:DWORD dst_unused:UNUSED_PAD src0_sel:WORD_1 src1_sel:DWORD
	v_fma_f16 v4, v30, v7, v4
	v_cvt_f32_f16_e32 v4, v4
	v_mad_u64_u32 v[2:3], s[0:1], s8, v17, v[2:3]
	v_add_u32_e32 v3, s4, v3
	v_cvt_f64_f32_e32 v[4:5], v4
	v_mul_f64 v[4:5], v[4:5], s[2:3]
	global_store_dword v[2:3], v1, off
	v_and_or_b32 v1, v5, s6, v4
	v_cmp_ne_u32_e32 vcc, 0, v1
	v_cndmask_b32_e64 v1, 0, 1, vcc
	v_lshrrev_b32_e32 v4, 8, v5
	v_bfe_u32 v8, v5, 20, 11
	v_and_or_b32 v1, v4, s7, v1
	v_sub_u32_e32 v9, 0x3f1, v8
	v_or_b32_e32 v4, 0x1000, v1
	v_med3_i32 v9, v9, 0, 13
	v_lshrrev_b32_e32 v10, v9, v4
	v_lshlrev_b32_e32 v9, v9, v10
	v_cmp_ne_u32_e32 vcc, v9, v4
	v_cndmask_b32_e64 v4, 0, 1, vcc
	v_add_u32_e32 v8, 0xfffffc10, v8
	v_or_b32_e32 v4, v10, v4
	v_lshl_or_b32 v9, v8, 12, v1
	v_cmp_gt_i32_e32 vcc, 1, v8
	v_cndmask_b32_e32 v4, v9, v4, vcc
	v_and_b32_e32 v9, 7, v4
	v_cmp_lt_i32_e32 vcc, 5, v9
	v_cmp_eq_u32_e64 s[0:1], 3, v9
	v_lshrrev_b32_e32 v4, 2, v4
	s_or_b64 vcc, s[0:1], vcc
	v_addc_co_u32_e32 v4, vcc, 0, v4, vcc
	v_mul_f16_sdwa v7, v30, v7 dst_sel:DWORD dst_unused:UNUSED_PAD src0_sel:WORD_1 src1_sel:DWORD
	v_cmp_gt_i32_e32 vcc, 31, v8
	v_fma_f16 v6, v30, v6, -v7
	v_cndmask_b32_e32 v4, v0, v4, vcc
	v_cmp_ne_u32_e32 vcc, 0, v1
	v_cvt_f32_f16_e32 v6, v6
	v_cndmask_b32_e64 v1, 0, 1, vcc
	v_lshl_or_b32 v1, v1, 9, v0
	v_cmp_eq_u32_e32 vcc, s10, v8
	v_cndmask_b32_e32 v1, v4, v1, vcc
	v_lshrrev_b32_e32 v4, 16, v5
	v_and_or_b32 v1, v4, s11, v1
	v_cvt_f64_f32_e32 v[4:5], v6
	v_mul_f64 v[4:5], v[4:5], s[2:3]
	v_and_or_b32 v4, v5, s6, v4
	v_cmp_ne_u32_e32 vcc, 0, v4
	v_cndmask_b32_e64 v4, 0, 1, vcc
	v_lshrrev_b32_e32 v6, 8, v5
	v_bfe_u32 v7, v5, 20, 11
	v_and_or_b32 v4, v6, s7, v4
	v_sub_u32_e32 v8, 0x3f1, v7
	v_or_b32_e32 v6, 0x1000, v4
	v_med3_i32 v8, v8, 0, 13
	v_lshrrev_b32_e32 v9, v8, v6
	v_lshlrev_b32_e32 v8, v8, v9
	v_cmp_ne_u32_e32 vcc, v8, v6
	v_cndmask_b32_e64 v6, 0, 1, vcc
	v_add_u32_e32 v7, 0xfffffc10, v7
	v_or_b32_e32 v6, v9, v6
	v_lshl_or_b32 v8, v7, 12, v4
	v_cmp_gt_i32_e32 vcc, 1, v7
	v_cndmask_b32_e32 v6, v8, v6, vcc
	v_and_b32_e32 v8, 7, v6
	v_cmp_lt_i32_e32 vcc, 5, v8
	v_cmp_eq_u32_e64 s[0:1], 3, v8
	v_lshrrev_b32_e32 v6, 2, v6
	s_or_b64 vcc, s[0:1], vcc
	v_addc_co_u32_e32 v6, vcc, 0, v6, vcc
	v_cmp_gt_i32_e32 vcc, 31, v7
	v_cndmask_b32_e32 v6, v0, v6, vcc
	v_cmp_ne_u32_e32 vcc, 0, v4
	v_cndmask_b32_e64 v4, 0, 1, vcc
	v_lshl_or_b32 v4, v4, 9, v0
	v_cmp_eq_u32_e32 vcc, s10, v7
	v_cndmask_b32_e32 v4, v6, v4, vcc
	ds_read_b32 v6, v28 offset:1088
	v_lshrrev_b32_e32 v5, 16, v5
	v_and_or_b32 v4, v5, s11, v4
	v_and_b32_e32 v1, 0xffff, v1
	v_lshl_or_b32 v1, v4, 16, v1
	s_waitcnt lgkmcnt(0)
	v_lshrrev_b32_e32 v7, 16, v6
	v_mul_f16_sdwa v4, v29, v7 dst_sel:DWORD dst_unused:UNUSED_PAD src0_sel:WORD_1 src1_sel:DWORD
	v_fma_f16 v4, v29, v6, v4
	v_cvt_f32_f16_e32 v4, v4
	v_mad_u64_u32 v[2:3], s[0:1], s8, v17, v[2:3]
	v_add_u32_e32 v3, s4, v3
	v_cvt_f64_f32_e32 v[4:5], v4
	v_mul_f64 v[4:5], v[4:5], s[2:3]
	global_store_dword v[2:3], v1, off
	v_and_or_b32 v1, v5, s6, v4
	v_cmp_ne_u32_e32 vcc, 0, v1
	v_cndmask_b32_e64 v1, 0, 1, vcc
	v_lshrrev_b32_e32 v4, 8, v5
	v_bfe_u32 v8, v5, 20, 11
	v_and_or_b32 v1, v4, s7, v1
	v_sub_u32_e32 v9, 0x3f1, v8
	v_or_b32_e32 v4, 0x1000, v1
	v_med3_i32 v9, v9, 0, 13
	v_lshrrev_b32_e32 v10, v9, v4
	v_lshlrev_b32_e32 v9, v9, v10
	v_cmp_ne_u32_e32 vcc, v9, v4
	v_cndmask_b32_e64 v4, 0, 1, vcc
	v_add_u32_e32 v8, 0xfffffc10, v8
	v_or_b32_e32 v4, v10, v4
	v_lshl_or_b32 v9, v8, 12, v1
	v_cmp_gt_i32_e32 vcc, 1, v8
	v_cndmask_b32_e32 v4, v9, v4, vcc
	v_and_b32_e32 v9, 7, v4
	v_cmp_lt_i32_e32 vcc, 5, v9
	v_cmp_eq_u32_e64 s[0:1], 3, v9
	v_lshrrev_b32_e32 v4, 2, v4
	s_or_b64 vcc, s[0:1], vcc
	v_addc_co_u32_e32 v4, vcc, 0, v4, vcc
	v_mul_f16_sdwa v6, v29, v6 dst_sel:DWORD dst_unused:UNUSED_PAD src0_sel:WORD_1 src1_sel:DWORD
	v_cmp_gt_i32_e32 vcc, 31, v8
	v_fma_f16 v6, v29, v7, -v6
	v_cndmask_b32_e32 v4, v0, v4, vcc
	v_cmp_ne_u32_e32 vcc, 0, v1
	v_cvt_f32_f16_e32 v6, v6
	v_cndmask_b32_e64 v1, 0, 1, vcc
	v_lshl_or_b32 v1, v1, 9, v0
	v_cmp_eq_u32_e32 vcc, s10, v8
	v_cndmask_b32_e32 v1, v4, v1, vcc
	v_lshrrev_b32_e32 v4, 16, v5
	v_and_or_b32 v1, v4, s11, v1
	v_cvt_f64_f32_e32 v[4:5], v6
	v_mul_f64 v[4:5], v[4:5], s[2:3]
	v_and_or_b32 v4, v5, s6, v4
	v_cmp_ne_u32_e32 vcc, 0, v4
	v_cndmask_b32_e64 v4, 0, 1, vcc
	v_lshrrev_b32_e32 v6, 8, v5
	v_bfe_u32 v7, v5, 20, 11
	v_and_or_b32 v4, v6, s7, v4
	v_sub_u32_e32 v8, 0x3f1, v7
	v_or_b32_e32 v6, 0x1000, v4
	v_med3_i32 v8, v8, 0, 13
	v_lshrrev_b32_e32 v9, v8, v6
	v_lshlrev_b32_e32 v8, v8, v9
	v_cmp_ne_u32_e32 vcc, v8, v6
	v_cndmask_b32_e64 v6, 0, 1, vcc
	v_add_u32_e32 v7, 0xfffffc10, v7
	v_or_b32_e32 v6, v9, v6
	v_lshl_or_b32 v8, v7, 12, v4
	v_cmp_gt_i32_e32 vcc, 1, v7
	v_cndmask_b32_e32 v6, v8, v6, vcc
	v_and_b32_e32 v8, 7, v6
	v_cmp_lt_i32_e32 vcc, 5, v8
	v_cmp_eq_u32_e64 s[0:1], 3, v8
	v_lshrrev_b32_e32 v6, 2, v6
	s_or_b64 vcc, s[0:1], vcc
	v_addc_co_u32_e32 v6, vcc, 0, v6, vcc
	v_cmp_gt_i32_e32 vcc, 31, v7
	v_cndmask_b32_e32 v6, v0, v6, vcc
	v_cmp_ne_u32_e32 vcc, 0, v4
	v_cndmask_b32_e64 v4, 0, 1, vcc
	v_lshl_or_b32 v0, v4, 9, v0
	v_cmp_eq_u32_e32 vcc, s10, v7
	v_cndmask_b32_e32 v0, v6, v0, vcc
	v_lshrrev_b32_e32 v4, 16, v5
	v_and_or_b32 v0, v4, s11, v0
	v_and_b32_e32 v1, 0xffff, v1
	v_lshl_or_b32 v4, v0, 16, v1
	v_mad_u64_u32 v[0:1], s[0:1], s8, v17, v[2:3]
	v_add_u32_e32 v1, s4, v1
	global_store_dword v[0:1], v4, off
.LBB0_2:
	s_endpgm
	.section	.rodata,"a",@progbits
	.p2align	6, 0x0
	.amdhsa_kernel bluestein_single_fwd_len289_dim1_half_op_CI_CI
		.amdhsa_group_segment_fixed_size 8092
		.amdhsa_private_segment_fixed_size 0
		.amdhsa_kernarg_size 104
		.amdhsa_user_sgpr_count 6
		.amdhsa_user_sgpr_private_segment_buffer 1
		.amdhsa_user_sgpr_dispatch_ptr 0
		.amdhsa_user_sgpr_queue_ptr 0
		.amdhsa_user_sgpr_kernarg_segment_ptr 1
		.amdhsa_user_sgpr_dispatch_id 0
		.amdhsa_user_sgpr_flat_scratch_init 0
		.amdhsa_user_sgpr_kernarg_preload_length 0
		.amdhsa_user_sgpr_kernarg_preload_offset 0
		.amdhsa_user_sgpr_private_segment_size 0
		.amdhsa_uses_dynamic_stack 0
		.amdhsa_system_sgpr_private_segment_wavefront_offset 0
		.amdhsa_system_sgpr_workgroup_id_x 1
		.amdhsa_system_sgpr_workgroup_id_y 0
		.amdhsa_system_sgpr_workgroup_id_z 0
		.amdhsa_system_sgpr_workgroup_info 0
		.amdhsa_system_vgpr_workitem_id 0
		.amdhsa_next_free_vgpr 103
		.amdhsa_next_free_sgpr 32
		.amdhsa_accum_offset 104
		.amdhsa_reserve_vcc 1
		.amdhsa_reserve_flat_scratch 0
		.amdhsa_float_round_mode_32 0
		.amdhsa_float_round_mode_16_64 0
		.amdhsa_float_denorm_mode_32 3
		.amdhsa_float_denorm_mode_16_64 3
		.amdhsa_dx10_clamp 1
		.amdhsa_ieee_mode 1
		.amdhsa_fp16_overflow 0
		.amdhsa_tg_split 0
		.amdhsa_exception_fp_ieee_invalid_op 0
		.amdhsa_exception_fp_denorm_src 0
		.amdhsa_exception_fp_ieee_div_zero 0
		.amdhsa_exception_fp_ieee_overflow 0
		.amdhsa_exception_fp_ieee_underflow 0
		.amdhsa_exception_fp_ieee_inexact 0
		.amdhsa_exception_int_div_zero 0
	.end_amdhsa_kernel
	.text
.Lfunc_end0:
	.size	bluestein_single_fwd_len289_dim1_half_op_CI_CI, .Lfunc_end0-bluestein_single_fwd_len289_dim1_half_op_CI_CI
                                        ; -- End function
	.section	.AMDGPU.csdata,"",@progbits
; Kernel info:
; codeLenInByte = 31480
; NumSgprs: 36
; NumVgprs: 103
; NumAgprs: 0
; TotalNumVgprs: 103
; ScratchSize: 0
; MemoryBound: 0
; FloatMode: 240
; IeeeMode: 1
; LDSByteSize: 8092 bytes/workgroup (compile time only)
; SGPRBlocks: 4
; VGPRBlocks: 12
; NumSGPRsForWavesPerEU: 36
; NumVGPRsForWavesPerEU: 103
; AccumOffset: 104
; Occupancy: 4
; WaveLimiterHint : 1
; COMPUTE_PGM_RSRC2:SCRATCH_EN: 0
; COMPUTE_PGM_RSRC2:USER_SGPR: 6
; COMPUTE_PGM_RSRC2:TRAP_HANDLER: 0
; COMPUTE_PGM_RSRC2:TGID_X_EN: 1
; COMPUTE_PGM_RSRC2:TGID_Y_EN: 0
; COMPUTE_PGM_RSRC2:TGID_Z_EN: 0
; COMPUTE_PGM_RSRC2:TIDIG_COMP_CNT: 0
; COMPUTE_PGM_RSRC3_GFX90A:ACCUM_OFFSET: 25
; COMPUTE_PGM_RSRC3_GFX90A:TG_SPLIT: 0
	.text
	.p2alignl 6, 3212836864
	.fill 256, 4, 3212836864
	.type	__hip_cuid_dc3e1753bee79549,@object ; @__hip_cuid_dc3e1753bee79549
	.section	.bss,"aw",@nobits
	.globl	__hip_cuid_dc3e1753bee79549
__hip_cuid_dc3e1753bee79549:
	.byte	0                               ; 0x0
	.size	__hip_cuid_dc3e1753bee79549, 1

	.ident	"AMD clang version 19.0.0git (https://github.com/RadeonOpenCompute/llvm-project roc-6.4.0 25133 c7fe45cf4b819c5991fe208aaa96edf142730f1d)"
	.section	".note.GNU-stack","",@progbits
	.addrsig
	.addrsig_sym __hip_cuid_dc3e1753bee79549
	.amdgpu_metadata
---
amdhsa.kernels:
  - .agpr_count:     0
    .args:
      - .actual_access:  read_only
        .address_space:  global
        .offset:         0
        .size:           8
        .value_kind:     global_buffer
      - .actual_access:  read_only
        .address_space:  global
        .offset:         8
        .size:           8
        .value_kind:     global_buffer
      - .actual_access:  read_only
        .address_space:  global
        .offset:         16
        .size:           8
        .value_kind:     global_buffer
      - .actual_access:  read_only
        .address_space:  global
        .offset:         24
        .size:           8
        .value_kind:     global_buffer
      - .actual_access:  read_only
        .address_space:  global
        .offset:         32
        .size:           8
        .value_kind:     global_buffer
      - .offset:         40
        .size:           8
        .value_kind:     by_value
      - .address_space:  global
        .offset:         48
        .size:           8
        .value_kind:     global_buffer
      - .address_space:  global
        .offset:         56
        .size:           8
        .value_kind:     global_buffer
      - .address_space:  global
        .offset:         64
        .size:           8
        .value_kind:     global_buffer
      - .address_space:  global
        .offset:         72
        .size:           8
        .value_kind:     global_buffer
      - .offset:         80
        .size:           4
        .value_kind:     by_value
      - .address_space:  global
        .offset:         88
        .size:           8
        .value_kind:     global_buffer
      - .address_space:  global
        .offset:         96
        .size:           8
        .value_kind:     global_buffer
    .group_segment_fixed_size: 8092
    .kernarg_segment_align: 8
    .kernarg_segment_size: 104
    .language:       OpenCL C
    .language_version:
      - 2
      - 0
    .max_flat_workgroup_size: 119
    .name:           bluestein_single_fwd_len289_dim1_half_op_CI_CI
    .private_segment_fixed_size: 0
    .sgpr_count:     36
    .sgpr_spill_count: 0
    .symbol:         bluestein_single_fwd_len289_dim1_half_op_CI_CI.kd
    .uniform_work_group_size: 1
    .uses_dynamic_stack: false
    .vgpr_count:     103
    .vgpr_spill_count: 0
    .wavefront_size: 64
amdhsa.target:   amdgcn-amd-amdhsa--gfx90a
amdhsa.version:
  - 1
  - 2
...

	.end_amdgpu_metadata
